;; amdgpu-corpus repo=zjin-lcf/HeCBench kind=compiled arch=gfx90a opt=O3
	.text
	.amdgcn_target "amdgcn-amd-amdhsa--gfx90a"
	.amdhsa_code_object_version 6
	.protected	_Z19apply_step_functionPfS_i ; -- Begin function _Z19apply_step_functionPfS_i
	.globl	_Z19apply_step_functionPfS_i
	.p2align	8
	.type	_Z19apply_step_functionPfS_i,@function
_Z19apply_step_functionPfS_i:           ; @_Z19apply_step_functionPfS_i
; %bb.0:
	s_load_dword s0, s[4:5], 0x24
	s_load_dword s1, s[4:5], 0x18
	;; [unrolled: 1-line block ×3, first 2 shown]
	s_waitcnt lgkmcnt(0)
	s_and_b32 s0, s0, 0xffff
	s_mul_i32 s1, s1, s0
	s_abs_i32 s3, s1
	v_cvt_f32_u32_e32 v1, s3
	s_mul_i32 s6, s6, s0
	v_add_u32_e32 v0, s6, v0
	s_ashr_i32 s0, s1, 31
	v_rcp_iflag_f32_e32 v1, v1
	s_sub_i32 s1, 0, s3
	v_mul_lo_u32 v2, v0, s2
	v_sub_u32_e32 v3, 0, v2
	v_mul_f32_e32 v1, 0x4f7ffffe, v1
	v_cvt_u32_f32_e32 v1, v1
	v_max_i32_e32 v3, v2, v3
	v_ashrrev_i32_e32 v0, 31, v2
	v_xor_b32_e32 v0, s0, v0
	v_mul_lo_u32 v4, s1, v1
	v_mul_hi_u32 v4, v1, v4
	v_add_u32_e32 v1, v1, v4
	v_mul_hi_u32 v4, v3, v1
	v_mul_lo_u32 v5, v4, s3
	v_sub_u32_e32 v3, v3, v5
	v_add_u32_e32 v5, 1, v4
	v_cmp_le_u32_e32 vcc, s3, v3
	v_cndmask_b32_e32 v4, v4, v5, vcc
	v_subrev_u32_e32 v5, s3, v3
	v_cndmask_b32_e32 v3, v3, v5, vcc
	v_add_u32_e32 v5, 1, v4
	v_cmp_le_u32_e32 vcc, s3, v3
	v_cndmask_b32_e32 v3, v4, v5, vcc
	v_add_u32_e32 v2, s2, v2
	v_xor_b32_e32 v3, v3, v0
	v_sub_u32_e32 v4, 0, v2
	v_sub_u32_e32 v0, v3, v0
	v_ashrrev_i32_e32 v3, 31, v2
	v_max_i32_e32 v2, v2, v4
	v_mul_hi_u32 v1, v2, v1
	v_mul_lo_u32 v4, v1, s3
	v_sub_u32_e32 v2, v2, v4
	v_add_u32_e32 v4, 1, v1
	v_cmp_le_u32_e32 vcc, s3, v2
	v_cndmask_b32_e32 v1, v1, v4, vcc
	v_subrev_u32_e32 v4, s3, v2
	v_cndmask_b32_e32 v2, v2, v4, vcc
	v_add_u32_e32 v4, 1, v1
	v_cmp_le_u32_e32 vcc, s3, v2
	v_xor_b32_e32 v3, s0, v3
	v_cndmask_b32_e32 v1, v1, v4, vcc
	v_xor_b32_e32 v1, v1, v3
	v_sub_u32_e32 v6, v1, v3
	v_cmp_lt_i32_e32 vcc, v0, v6
	s_and_saveexec_b64 s[0:1], vcc
	s_cbranch_execz .LBB0_3
; %bb.1:
	s_load_dwordx4 s[0:3], s[4:5], 0x0
	v_ashrrev_i32_e32 v1, 31, v0
	v_lshlrev_b64 v[4:5], 2, v[0:1]
	s_mov_b32 s4, 0xc2b17218
	s_waitcnt lgkmcnt(0)
	v_mov_b32_e32 v1, s1
	v_add_co_u32_e32 v2, vcc, s0, v4
	v_addc_co_u32_e32 v3, vcc, v1, v5, vcc
	v_mov_b32_e32 v1, s3
	v_add_co_u32_e32 v4, vcc, s2, v4
	v_addc_co_u32_e32 v5, vcc, v1, v5, vcc
	s_mov_b64 s[0:1], 0
	s_mov_b32 s2, 0xbfb8aa3b
	s_mov_b32 s3, 0x42ce8ed0
	v_mov_b32_e32 v1, 0x7f800000
.LBB0_2:                                ; =>This Inner Loop Header: Depth=1
	global_load_dword v7, v[2:3], off
	v_add_co_u32_e32 v2, vcc, 4, v2
	v_add_u32_e32 v0, 1, v0
	v_addc_co_u32_e32 v3, vcc, 0, v3, vcc
	v_cmp_ge_i32_e32 vcc, v0, v6
	s_or_b64 s[0:1], vcc, s[0:1]
	s_waitcnt vmcnt(0)
	v_mul_f32_e32 v8, 0xbfb8aa3b, v7
	v_rndne_f32_e32 v9, v8
	v_fma_f32 v10, v7, s2, -v8
	v_sub_f32_e32 v8, v8, v9
	v_fmac_f32_e32 v10, 0xb2a5705f, v7
	v_add_f32_e32 v8, v8, v10
	v_cvt_i32_f32_e32 v9, v9
	v_exp_f32_e32 v8, v8
	v_cmp_nlt_f32_e32 vcc, s3, v7
	v_ldexp_f32 v8, v8, v9
	v_cndmask_b32_e32 v8, 0, v8, vcc
	v_cmp_ngt_f32_e32 vcc, s4, v7
	v_cndmask_b32_e32 v7, v1, v8, vcc
	v_add_f32_e32 v7, 1.0, v7
	v_div_scale_f32 v8, s[6:7], v7, v7, 1.0
	v_rcp_f32_e32 v10, v8
	v_div_scale_f32 v9, vcc, 1.0, v7, 1.0
	v_fma_f32 v11, -v8, v10, 1.0
	v_fmac_f32_e32 v10, v11, v10
	v_mul_f32_e32 v11, v9, v10
	v_fma_f32 v12, -v8, v11, v9
	v_fmac_f32_e32 v11, v12, v10
	v_fma_f32 v8, -v8, v11, v9
	v_div_fmas_f32 v8, v8, v10, v11
	v_div_fixup_f32 v7, v8, v7, 1.0
	global_store_dword v[4:5], v7, off
	v_add_co_u32_e32 v4, vcc, 4, v4
	v_addc_co_u32_e32 v5, vcc, 0, v5, vcc
	s_andn2_b64 exec, exec, s[0:1]
	s_cbranch_execnz .LBB0_2
.LBB0_3:
	s_endpgm
	.section	.rodata,"a",@progbits
	.p2align	6, 0x0
	.amdhsa_kernel _Z19apply_step_functionPfS_i
		.amdhsa_group_segment_fixed_size 0
		.amdhsa_private_segment_fixed_size 0
		.amdhsa_kernarg_size 280
		.amdhsa_user_sgpr_count 6
		.amdhsa_user_sgpr_private_segment_buffer 1
		.amdhsa_user_sgpr_dispatch_ptr 0
		.amdhsa_user_sgpr_queue_ptr 0
		.amdhsa_user_sgpr_kernarg_segment_ptr 1
		.amdhsa_user_sgpr_dispatch_id 0
		.amdhsa_user_sgpr_flat_scratch_init 0
		.amdhsa_user_sgpr_kernarg_preload_length 0
		.amdhsa_user_sgpr_kernarg_preload_offset 0
		.amdhsa_user_sgpr_private_segment_size 0
		.amdhsa_uses_dynamic_stack 0
		.amdhsa_system_sgpr_private_segment_wavefront_offset 0
		.amdhsa_system_sgpr_workgroup_id_x 1
		.amdhsa_system_sgpr_workgroup_id_y 0
		.amdhsa_system_sgpr_workgroup_id_z 0
		.amdhsa_system_sgpr_workgroup_info 0
		.amdhsa_system_vgpr_workitem_id 0
		.amdhsa_next_free_vgpr 13
		.amdhsa_next_free_sgpr 8
		.amdhsa_accum_offset 16
		.amdhsa_reserve_vcc 1
		.amdhsa_reserve_flat_scratch 0
		.amdhsa_float_round_mode_32 0
		.amdhsa_float_round_mode_16_64 0
		.amdhsa_float_denorm_mode_32 3
		.amdhsa_float_denorm_mode_16_64 3
		.amdhsa_dx10_clamp 1
		.amdhsa_ieee_mode 1
		.amdhsa_fp16_overflow 0
		.amdhsa_tg_split 0
		.amdhsa_exception_fp_ieee_invalid_op 0
		.amdhsa_exception_fp_denorm_src 0
		.amdhsa_exception_fp_ieee_div_zero 0
		.amdhsa_exception_fp_ieee_overflow 0
		.amdhsa_exception_fp_ieee_underflow 0
		.amdhsa_exception_fp_ieee_inexact 0
		.amdhsa_exception_int_div_zero 0
	.end_amdhsa_kernel
	.text
.Lfunc_end0:
	.size	_Z19apply_step_functionPfS_i, .Lfunc_end0-_Z19apply_step_functionPfS_i
                                        ; -- End function
	.section	.AMDGPU.csdata,"",@progbits
; Kernel info:
; codeLenInByte = 564
; NumSgprs: 12
; NumVgprs: 13
; NumAgprs: 0
; TotalNumVgprs: 13
; ScratchSize: 0
; MemoryBound: 0
; FloatMode: 240
; IeeeMode: 1
; LDSByteSize: 0 bytes/workgroup (compile time only)
; SGPRBlocks: 1
; VGPRBlocks: 1
; NumSGPRsForWavesPerEU: 12
; NumVGPRsForWavesPerEU: 13
; AccumOffset: 16
; Occupancy: 8
; WaveLimiterHint : 0
; COMPUTE_PGM_RSRC2:SCRATCH_EN: 0
; COMPUTE_PGM_RSRC2:USER_SGPR: 6
; COMPUTE_PGM_RSRC2:TRAP_HANDLER: 0
; COMPUTE_PGM_RSRC2:TGID_X_EN: 1
; COMPUTE_PGM_RSRC2:TGID_Y_EN: 0
; COMPUTE_PGM_RSRC2:TGID_Z_EN: 0
; COMPUTE_PGM_RSRC2:TIDIG_COMP_CNT: 0
; COMPUTE_PGM_RSRC3_GFX90A:ACCUM_OFFSET: 3
; COMPUTE_PGM_RSRC3_GFX90A:TG_SPLIT: 0
	.text
	.protected	_Z9makeErrorPfS_ji      ; -- Begin function _Z9makeErrorPfS_ji
	.globl	_Z9makeErrorPfS_ji
	.p2align	8
	.type	_Z9makeErrorPfS_ji,@function
_Z9makeErrorPfS_ji:                     ; @_Z9makeErrorPfS_ji
; %bb.0:
	s_load_dword s2, s[4:5], 0x24
	s_load_dword s3, s[4:5], 0x18
	s_load_dwordx2 s[0:1], s[4:5], 0x10
	s_waitcnt lgkmcnt(0)
	s_and_b32 s2, s2, 0xffff
	s_mul_i32 s3, s3, s2
	s_abs_i32 s7, s3
	v_cvt_f32_u32_e32 v1, s7
	s_mul_i32 s6, s6, s2
	v_add_u32_e32 v0, s6, v0
	s_ashr_i32 s2, s3, 31
	v_rcp_iflag_f32_e32 v1, v1
	s_sub_i32 s3, 0, s7
	v_mul_lo_u32 v2, v0, s1
	v_sub_u32_e32 v3, 0, v2
	v_mul_f32_e32 v1, 0x4f7ffffe, v1
	v_cvt_u32_f32_e32 v1, v1
	v_max_i32_e32 v3, v2, v3
	v_ashrrev_i32_e32 v0, 31, v2
	v_xor_b32_e32 v0, s2, v0
	v_mul_lo_u32 v4, s3, v1
	v_mul_hi_u32 v4, v1, v4
	v_add_u32_e32 v1, v1, v4
	v_mul_hi_u32 v4, v3, v1
	v_mul_lo_u32 v5, v4, s7
	v_sub_u32_e32 v3, v3, v5
	v_add_u32_e32 v5, 1, v4
	v_cmp_le_u32_e32 vcc, s7, v3
	v_cndmask_b32_e32 v4, v4, v5, vcc
	v_subrev_u32_e32 v5, s7, v3
	v_cndmask_b32_e32 v3, v3, v5, vcc
	v_add_u32_e32 v5, 1, v4
	v_cmp_le_u32_e32 vcc, s7, v3
	v_cndmask_b32_e32 v3, v4, v5, vcc
	v_add_u32_e32 v2, s1, v2
	v_xor_b32_e32 v3, v3, v0
	v_sub_u32_e32 v4, 0, v2
	v_sub_u32_e32 v0, v3, v0
	v_ashrrev_i32_e32 v3, 31, v2
	v_max_i32_e32 v2, v2, v4
	v_mul_hi_u32 v1, v2, v1
	v_mul_lo_u32 v4, v1, s7
	v_sub_u32_e32 v2, v2, v4
	v_add_u32_e32 v4, 1, v1
	v_cmp_le_u32_e32 vcc, s7, v2
	v_cndmask_b32_e32 v1, v1, v4, vcc
	v_subrev_u32_e32 v4, s7, v2
	v_cndmask_b32_e32 v2, v2, v4, vcc
	v_add_u32_e32 v4, 1, v1
	v_cmp_le_u32_e32 vcc, s7, v2
	v_xor_b32_e32 v3, s2, v3
	v_cndmask_b32_e32 v1, v1, v4, vcc
	v_xor_b32_e32 v1, v1, v3
	v_sub_u32_e32 v6, v1, v3
	v_cmp_lt_i32_e32 vcc, v0, v6
	s_and_saveexec_b64 s[2:3], vcc
	s_cbranch_execz .LBB1_3
; %bb.1:
	s_load_dwordx4 s[4:7], s[4:5], 0x0
	v_ashrrev_i32_e32 v1, 31, v0
	v_lshlrev_b64 v[4:5], 2, v[0:1]
	s_mov_b64 s[2:3], 0
	s_waitcnt lgkmcnt(0)
	v_mov_b32_e32 v1, s7
	v_add_co_u32_e32 v2, vcc, s6, v4
	v_addc_co_u32_e32 v3, vcc, v1, v5, vcc
	v_mov_b32_e32 v1, s5
	v_add_co_u32_e32 v4, vcc, s4, v4
	v_addc_co_u32_e32 v5, vcc, v1, v5, vcc
.LBB1_2:                                ; =>This Inner Loop Header: Depth=1
	global_load_dword v1, v[2:3], off
	v_cmp_eq_u32_e32 vcc, s0, v0
	v_cndmask_b32_e64 v7, 0, 1.0, vcc
	v_add_co_u32_e32 v2, vcc, 4, v2
	v_add_u32_e32 v0, 1, v0
	v_addc_co_u32_e32 v3, vcc, 0, v3, vcc
	v_cmp_ge_i32_e32 vcc, v0, v6
	s_or_b64 s[2:3], vcc, s[2:3]
	s_waitcnt vmcnt(0)
	v_sub_f32_e32 v1, v7, v1
	global_store_dword v[4:5], v1, off
	v_add_co_u32_e32 v4, vcc, 4, v4
	v_addc_co_u32_e32 v5, vcc, 0, v5, vcc
	s_andn2_b64 exec, exec, s[2:3]
	s_cbranch_execnz .LBB1_2
.LBB1_3:
	s_endpgm
	.section	.rodata,"a",@progbits
	.p2align	6, 0x0
	.amdhsa_kernel _Z9makeErrorPfS_ji
		.amdhsa_group_segment_fixed_size 0
		.amdhsa_private_segment_fixed_size 0
		.amdhsa_kernarg_size 280
		.amdhsa_user_sgpr_count 6
		.amdhsa_user_sgpr_private_segment_buffer 1
		.amdhsa_user_sgpr_dispatch_ptr 0
		.amdhsa_user_sgpr_queue_ptr 0
		.amdhsa_user_sgpr_kernarg_segment_ptr 1
		.amdhsa_user_sgpr_dispatch_id 0
		.amdhsa_user_sgpr_flat_scratch_init 0
		.amdhsa_user_sgpr_kernarg_preload_length 0
		.amdhsa_user_sgpr_kernarg_preload_offset 0
		.amdhsa_user_sgpr_private_segment_size 0
		.amdhsa_uses_dynamic_stack 0
		.amdhsa_system_sgpr_private_segment_wavefront_offset 0
		.amdhsa_system_sgpr_workgroup_id_x 1
		.amdhsa_system_sgpr_workgroup_id_y 0
		.amdhsa_system_sgpr_workgroup_id_z 0
		.amdhsa_system_sgpr_workgroup_info 0
		.amdhsa_system_vgpr_workitem_id 0
		.amdhsa_next_free_vgpr 8
		.amdhsa_next_free_sgpr 8
		.amdhsa_accum_offset 8
		.amdhsa_reserve_vcc 1
		.amdhsa_reserve_flat_scratch 0
		.amdhsa_float_round_mode_32 0
		.amdhsa_float_round_mode_16_64 0
		.amdhsa_float_denorm_mode_32 3
		.amdhsa_float_denorm_mode_16_64 3
		.amdhsa_dx10_clamp 1
		.amdhsa_ieee_mode 1
		.amdhsa_fp16_overflow 0
		.amdhsa_tg_split 0
		.amdhsa_exception_fp_ieee_invalid_op 0
		.amdhsa_exception_fp_denorm_src 0
		.amdhsa_exception_fp_ieee_div_zero 0
		.amdhsa_exception_fp_ieee_overflow 0
		.amdhsa_exception_fp_ieee_underflow 0
		.amdhsa_exception_fp_ieee_inexact 0
		.amdhsa_exception_int_div_zero 0
	.end_amdhsa_kernel
	.text
.Lfunc_end1:
	.size	_Z9makeErrorPfS_ji, .Lfunc_end1-_Z9makeErrorPfS_ji
                                        ; -- End function
	.section	.AMDGPU.csdata,"",@progbits
; Kernel info:
; codeLenInByte = 404
; NumSgprs: 12
; NumVgprs: 8
; NumAgprs: 0
; TotalNumVgprs: 8
; ScratchSize: 0
; MemoryBound: 0
; FloatMode: 240
; IeeeMode: 1
; LDSByteSize: 0 bytes/workgroup (compile time only)
; SGPRBlocks: 1
; VGPRBlocks: 0
; NumSGPRsForWavesPerEU: 12
; NumVGPRsForWavesPerEU: 8
; AccumOffset: 8
; Occupancy: 8
; WaveLimiterHint : 0
; COMPUTE_PGM_RSRC2:SCRATCH_EN: 0
; COMPUTE_PGM_RSRC2:USER_SGPR: 6
; COMPUTE_PGM_RSRC2:TRAP_HANDLER: 0
; COMPUTE_PGM_RSRC2:TGID_X_EN: 1
; COMPUTE_PGM_RSRC2:TGID_Y_EN: 0
; COMPUTE_PGM_RSRC2:TGID_Z_EN: 0
; COMPUTE_PGM_RSRC2:TIDIG_COMP_CNT: 0
; COMPUTE_PGM_RSRC3_GFX90A:ACCUM_OFFSET: 1
; COMPUTE_PGM_RSRC3_GFX90A:TG_SPLIT: 0
	.text
	.protected	_Z10apply_gradPfS_i     ; -- Begin function _Z10apply_gradPfS_i
	.globl	_Z10apply_gradPfS_i
	.p2align	8
	.type	_Z10apply_gradPfS_i,@function
_Z10apply_gradPfS_i:                    ; @_Z10apply_gradPfS_i
; %bb.0:
	s_load_dword s0, s[4:5], 0x24
	s_load_dword s1, s[4:5], 0x18
	;; [unrolled: 1-line block ×3, first 2 shown]
	s_waitcnt lgkmcnt(0)
	s_and_b32 s0, s0, 0xffff
	s_mul_i32 s1, s1, s0
	s_abs_i32 s3, s1
	v_cvt_f32_u32_e32 v1, s3
	s_mul_i32 s6, s6, s0
	v_add_u32_e32 v0, s6, v0
	s_ashr_i32 s0, s1, 31
	v_rcp_iflag_f32_e32 v1, v1
	s_sub_i32 s1, 0, s3
	v_mul_lo_u32 v2, v0, s2
	v_sub_u32_e32 v3, 0, v2
	v_mul_f32_e32 v1, 0x4f7ffffe, v1
	v_cvt_u32_f32_e32 v1, v1
	v_max_i32_e32 v3, v2, v3
	v_ashrrev_i32_e32 v0, 31, v2
	v_xor_b32_e32 v0, s0, v0
	v_mul_lo_u32 v4, s1, v1
	v_mul_hi_u32 v4, v1, v4
	v_add_u32_e32 v1, v1, v4
	v_mul_hi_u32 v4, v3, v1
	v_mul_lo_u32 v5, v4, s3
	v_sub_u32_e32 v3, v3, v5
	v_add_u32_e32 v5, 1, v4
	v_cmp_le_u32_e32 vcc, s3, v3
	v_cndmask_b32_e32 v4, v4, v5, vcc
	v_subrev_u32_e32 v5, s3, v3
	v_cndmask_b32_e32 v3, v3, v5, vcc
	v_add_u32_e32 v5, 1, v4
	v_cmp_le_u32_e32 vcc, s3, v3
	v_cndmask_b32_e32 v3, v4, v5, vcc
	v_add_u32_e32 v2, s2, v2
	v_xor_b32_e32 v3, v3, v0
	v_sub_u32_e32 v4, 0, v2
	v_sub_u32_e32 v0, v3, v0
	v_ashrrev_i32_e32 v3, 31, v2
	v_max_i32_e32 v2, v2, v4
	v_mul_hi_u32 v1, v2, v1
	v_mul_lo_u32 v4, v1, s3
	v_sub_u32_e32 v2, v2, v4
	v_add_u32_e32 v4, 1, v1
	v_cmp_le_u32_e32 vcc, s3, v2
	v_cndmask_b32_e32 v1, v1, v4, vcc
	v_subrev_u32_e32 v4, s3, v2
	v_cndmask_b32_e32 v2, v2, v4, vcc
	v_add_u32_e32 v4, 1, v1
	v_cmp_le_u32_e32 vcc, s3, v2
	v_xor_b32_e32 v3, s0, v3
	v_cndmask_b32_e32 v1, v1, v4, vcc
	v_xor_b32_e32 v1, v1, v3
	v_sub_u32_e32 v6, v1, v3
	v_cmp_lt_i32_e32 vcc, v0, v6
	s_and_saveexec_b64 s[0:1], vcc
	s_cbranch_execz .LBB2_3
; %bb.1:
	s_load_dwordx4 s[0:3], s[4:5], 0x0
	v_ashrrev_i32_e32 v1, 31, v0
	v_lshlrev_b64 v[4:5], 2, v[0:1]
	s_waitcnt lgkmcnt(0)
	v_mov_b32_e32 v1, s3
	v_add_co_u32_e32 v2, vcc, s2, v4
	v_addc_co_u32_e32 v3, vcc, v1, v5, vcc
	v_mov_b32_e32 v1, s1
	v_add_co_u32_e32 v4, vcc, s0, v4
	v_addc_co_u32_e32 v5, vcc, v1, v5, vcc
	s_mov_b64 s[0:1], 0
.LBB2_2:                                ; =>This Inner Loop Header: Depth=1
	global_load_dword v1, v[2:3], off
	global_load_dword v7, v[4:5], off
	v_add_co_u32_e32 v2, vcc, 4, v2
	v_add_u32_e32 v0, 1, v0
	v_addc_co_u32_e32 v3, vcc, 0, v3, vcc
	v_cmp_ge_i32_e32 vcc, v0, v6
	s_or_b64 s[0:1], vcc, s[0:1]
	s_waitcnt vmcnt(0)
	v_fmac_f32_e32 v7, 0x3dcccccd, v1
	global_store_dword v[4:5], v7, off
	v_add_co_u32_e32 v4, vcc, 4, v4
	v_addc_co_u32_e32 v5, vcc, 0, v5, vcc
	s_andn2_b64 exec, exec, s[0:1]
	s_cbranch_execnz .LBB2_2
.LBB2_3:
	s_endpgm
	.section	.rodata,"a",@progbits
	.p2align	6, 0x0
	.amdhsa_kernel _Z10apply_gradPfS_i
		.amdhsa_group_segment_fixed_size 0
		.amdhsa_private_segment_fixed_size 0
		.amdhsa_kernarg_size 280
		.amdhsa_user_sgpr_count 6
		.amdhsa_user_sgpr_private_segment_buffer 1
		.amdhsa_user_sgpr_dispatch_ptr 0
		.amdhsa_user_sgpr_queue_ptr 0
		.amdhsa_user_sgpr_kernarg_segment_ptr 1
		.amdhsa_user_sgpr_dispatch_id 0
		.amdhsa_user_sgpr_flat_scratch_init 0
		.amdhsa_user_sgpr_kernarg_preload_length 0
		.amdhsa_user_sgpr_kernarg_preload_offset 0
		.amdhsa_user_sgpr_private_segment_size 0
		.amdhsa_uses_dynamic_stack 0
		.amdhsa_system_sgpr_private_segment_wavefront_offset 0
		.amdhsa_system_sgpr_workgroup_id_x 1
		.amdhsa_system_sgpr_workgroup_id_y 0
		.amdhsa_system_sgpr_workgroup_id_z 0
		.amdhsa_system_sgpr_workgroup_info 0
		.amdhsa_system_vgpr_workitem_id 0
		.amdhsa_next_free_vgpr 8
		.amdhsa_next_free_sgpr 7
		.amdhsa_accum_offset 8
		.amdhsa_reserve_vcc 1
		.amdhsa_reserve_flat_scratch 0
		.amdhsa_float_round_mode_32 0
		.amdhsa_float_round_mode_16_64 0
		.amdhsa_float_denorm_mode_32 3
		.amdhsa_float_denorm_mode_16_64 3
		.amdhsa_dx10_clamp 1
		.amdhsa_ieee_mode 1
		.amdhsa_fp16_overflow 0
		.amdhsa_tg_split 0
		.amdhsa_exception_fp_ieee_invalid_op 0
		.amdhsa_exception_fp_denorm_src 0
		.amdhsa_exception_fp_ieee_div_zero 0
		.amdhsa_exception_fp_ieee_overflow 0
		.amdhsa_exception_fp_ieee_underflow 0
		.amdhsa_exception_fp_ieee_inexact 0
		.amdhsa_exception_int_div_zero 0
	.end_amdhsa_kernel
	.text
.Lfunc_end2:
	.size	_Z10apply_gradPfS_i, .Lfunc_end2-_Z10apply_gradPfS_i
                                        ; -- End function
	.section	.AMDGPU.csdata,"",@progbits
; Kernel info:
; codeLenInByte = 404
; NumSgprs: 11
; NumVgprs: 8
; NumAgprs: 0
; TotalNumVgprs: 8
; ScratchSize: 0
; MemoryBound: 0
; FloatMode: 240
; IeeeMode: 1
; LDSByteSize: 0 bytes/workgroup (compile time only)
; SGPRBlocks: 1
; VGPRBlocks: 0
; NumSGPRsForWavesPerEU: 11
; NumVGPRsForWavesPerEU: 8
; AccumOffset: 8
; Occupancy: 8
; WaveLimiterHint : 0
; COMPUTE_PGM_RSRC2:SCRATCH_EN: 0
; COMPUTE_PGM_RSRC2:USER_SGPR: 6
; COMPUTE_PGM_RSRC2:TRAP_HANDLER: 0
; COMPUTE_PGM_RSRC2:TGID_X_EN: 1
; COMPUTE_PGM_RSRC2:TGID_Y_EN: 0
; COMPUTE_PGM_RSRC2:TGID_Z_EN: 0
; COMPUTE_PGM_RSRC2:TIDIG_COMP_CNT: 0
; COMPUTE_PGM_RSRC3_GFX90A:ACCUM_OFFSET: 1
; COMPUTE_PGM_RSRC3_GFX90A:TG_SPLIT: 0
	.text
	.protected	_Z12fp_preact_c1PA28_fPA24_A24_fPA5_A5_f ; -- Begin function _Z12fp_preact_c1PA28_fPA24_A24_fPA5_A5_f
	.globl	_Z12fp_preact_c1PA28_fPA24_A24_fPA5_A5_f
	.p2align	8
	.type	_Z12fp_preact_c1PA28_fPA24_A24_fPA5_A5_f,@function
_Z12fp_preact_c1PA28_fPA24_A24_fPA5_A5_f: ; @_Z12fp_preact_c1PA28_fPA24_A24_fPA5_A5_f
; %bb.0:
	s_load_dword s0, s[4:5], 0x24
	s_load_dword s1, s[4:5], 0x18
	s_mov_b32 s2, 0x15180
	s_waitcnt lgkmcnt(0)
	s_and_b32 s0, s0, 0xffff
	s_mul_i32 s1, s1, s0
	s_abs_i32 s3, s1
	v_cvt_f32_u32_e32 v1, s3
	s_mul_i32 s6, s6, s0
	v_add_u32_e32 v0, s6, v0
	s_ashr_i32 s0, s1, 31
	v_rcp_iflag_f32_e32 v1, v1
	s_sub_i32 s1, 0, s3
	v_mul_lo_u32 v0, v0, s2
	v_sub_u32_e32 v3, 0, v0
	v_mul_f32_e32 v1, 0x4f7ffffe, v1
	v_cvt_u32_f32_e32 v1, v1
	v_max_i32_e32 v3, v0, v3
	v_ashrrev_i32_e32 v2, 31, v0
	v_xor_b32_e32 v2, s0, v2
	v_mul_lo_u32 v4, s1, v1
	v_mul_hi_u32 v4, v1, v4
	v_add_u32_e32 v1, v1, v4
	v_mul_hi_u32 v4, v3, v1
	v_mul_lo_u32 v5, v4, s3
	v_sub_u32_e32 v3, v3, v5
	v_add_u32_e32 v5, 1, v4
	v_cmp_le_u32_e32 vcc, s3, v3
	v_cndmask_b32_e32 v4, v4, v5, vcc
	v_subrev_u32_e32 v5, s3, v3
	v_cndmask_b32_e32 v3, v3, v5, vcc
	v_add_u32_e32 v5, 1, v4
	v_cmp_le_u32_e32 vcc, s3, v3
	v_cndmask_b32_e32 v3, v4, v5, vcc
	v_xor_b32_e32 v3, v3, v2
	v_add_u32_e32 v0, 0x15180, v0
	v_sub_u32_e32 v10, v3, v2
	v_sub_u32_e32 v3, 0, v0
	v_ashrrev_i32_e32 v2, 31, v0
	v_max_i32_e32 v0, v0, v3
	v_mul_hi_u32 v1, v0, v1
	v_mul_lo_u32 v3, v1, s3
	v_sub_u32_e32 v0, v0, v3
	v_add_u32_e32 v3, 1, v1
	v_cmp_le_u32_e32 vcc, s3, v0
	v_cndmask_b32_e32 v1, v1, v3, vcc
	v_subrev_u32_e32 v3, s3, v0
	v_cndmask_b32_e32 v0, v0, v3, vcc
	v_add_u32_e32 v3, 1, v1
	v_cmp_le_u32_e32 vcc, s3, v0
	v_xor_b32_e32 v2, s0, v2
	v_cndmask_b32_e32 v0, v1, v3, vcc
	v_xor_b32_e32 v0, v0, v2
	v_sub_u32_e32 v11, v0, v2
	v_cmp_lt_i32_e32 vcc, v10, v11
	s_and_saveexec_b64 s[0:1], vcc
	s_cbranch_execz .LBB3_5
; %bb.1:
	s_load_dwordx4 s[16:19], s[4:5], 0x0
	s_load_dwordx2 s[2:3], s[4:5], 0x10
	s_mov_b64 s[0:1], 0
	s_mov_b32 s4, 0x66666667
	s_mov_b32 s5, 0x51eb851f
	;; [unrolled: 1-line block ×5, first 2 shown]
	s_movk_i32 s9, 0x900
	s_waitcnt lgkmcnt(0)
	v_pk_mov_b32 v[0:1], s[18:19], s[18:19] op_sel:[0,1]
	s_movk_i32 s10, 0x60
	s_movk_i32 s11, 0x64
	v_pk_mov_b32 v[2:3], s[2:3], s[2:3] op_sel:[0,1]
	s_movk_i32 s12, 0x70
	v_pk_mov_b32 v[4:5], s[16:17], s[16:17] op_sel:[0,1]
.LBB3_2:                                ; =>This Loop Header: Depth=1
                                        ;     Child Loop BB3_3 Depth 2
	v_mul_hi_i32 v6, v10, s4
	v_lshrrev_b32_e32 v7, 31, v6
	v_ashrrev_i32_e32 v6, 1, v6
	v_add_u32_e32 v6, v6, v7
	v_lshl_add_u32 v7, v6, 2, v6
	v_sub_u32_e32 v20, v10, v7
	v_mul_hi_i32 v7, v6, s4
	v_lshrrev_b32_e32 v8, 31, v7
	v_ashrrev_i32_e32 v7, 1, v7
	v_add_u32_e32 v7, v7, v8
	v_lshl_add_u32 v7, v7, 2, v7
	v_sub_u32_e32 v6, v6, v7
	v_mul_hi_i32 v7, v10, s5
	v_lshrrev_b32_e32 v8, 31, v7
	v_ashrrev_i32_e32 v7, 3, v7
	v_add_u32_e32 v7, v7, v8
	v_mul_hi_i32 v8, v7, s6
	v_lshrrev_b32_e32 v9, 31, v8
	v_add_u32_e32 v8, v8, v9
	v_mul_lo_u32 v8, v8, 6
	v_sub_u32_e32 v18, v7, v8
	v_mul_hi_i32 v7, v10, s7
	v_lshrrev_b32_e32 v8, 31, v7
	v_ashrrev_i32_e32 v7, 4, v7
	v_add_u32_e32 v7, v7, v8
	v_mul_hi_i32 v8, v7, s6
	v_lshrrev_b32_e32 v9, 31, v8
	v_lshrrev_b32_e32 v8, 2, v8
	v_add_u32_e32 v8, v8, v9
	v_mul_lo_u32 v8, v8, 24
	v_sub_u32_e32 v21, v7, v8
	v_mul_hi_i32 v7, v10, s8
	v_add_u32_e32 v7, v7, v10
	v_lshrrev_b32_e32 v8, 31, v7
	v_ashrrev_i32_e32 v7, 11, v7
	v_add_u32_e32 v7, v7, v8
	v_mul_hi_i32 v8, v7, s6
	v_lshrrev_b32_e32 v9, 31, v8
	v_lshrrev_b32_e32 v8, 2, v8
	v_add_u32_e32 v8, v8, v9
	v_mul_lo_u32 v8, v8, 24
	v_sub_u32_e32 v8, v7, v8
	v_mad_i64_i32 v[12:13], s[2:3], v18, s9, v[0:1]
	v_ashrrev_i32_e32 v7, 31, v6
	v_mad_i64_i32 v[18:19], s[2:3], v18, s11, v[2:3]
	v_ashrrev_i32_e32 v9, 31, v8
	v_lshlrev_b64 v[16:17], 2, v[6:7]
	v_mad_i64_i32 v[18:19], s[2:3], v20, 20, v[18:19]
	v_add_u32_e32 v6, v8, v6
	v_lshlrev_b64 v[14:15], 2, v[8:9]
	v_add_co_u32_e32 v16, vcc, v18, v16
	v_add_u32_e32 v9, v21, v20
	v_ashrrev_i32_e32 v7, 31, v6
	v_addc_co_u32_e32 v17, vcc, v19, v17, vcc
	v_lshlrev_b64 v[6:7], 2, v[6:7]
	v_mad_i64_i32 v[8:9], s[2:3], v9, s12, v[4:5]
	v_add_co_u32_e32 v6, vcc, v8, v6
	v_mad_i64_i32 v[12:13], s[2:3], v21, s10, v[12:13]
	v_addc_co_u32_e32 v7, vcc, v9, v7, vcc
	global_load_dword v8, v[6:7], off
	v_add_co_u32_e32 v6, vcc, v12, v14
	global_load_dword v16, v[16:17], off
	v_addc_co_u32_e32 v7, vcc, v13, v15, vcc
	global_load_dword v9, v[6:7], off
	s_mov_b64 s[2:3], 0
	s_waitcnt vmcnt(1)
	v_mul_f32_e32 v12, v16, v8
.LBB3_3:                                ;   Parent Loop BB3_2 Depth=1
                                        ; =>  This Inner Loop Header: Depth=2
	s_waitcnt vmcnt(0)
	v_add_f32_e32 v8, v9, v12
	global_atomic_cmpswap v8, v[6:7], v[8:9], off glc
	s_waitcnt vmcnt(0)
	v_cmp_eq_u32_e32 vcc, v8, v9
	s_or_b64 s[2:3], vcc, s[2:3]
	v_mov_b32_e32 v9, v8
	s_andn2_b64 exec, exec, s[2:3]
	s_cbranch_execnz .LBB3_3
; %bb.4:                                ;   in Loop: Header=BB3_2 Depth=1
	s_or_b64 exec, exec, s[2:3]
	v_add_u32_e32 v10, 1, v10
	v_cmp_ge_i32_e32 vcc, v10, v11
	s_or_b64 s[0:1], vcc, s[0:1]
	s_andn2_b64 exec, exec, s[0:1]
	s_cbranch_execnz .LBB3_2
.LBB3_5:
	s_endpgm
	.section	.rodata,"a",@progbits
	.p2align	6, 0x0
	.amdhsa_kernel _Z12fp_preact_c1PA28_fPA24_A24_fPA5_A5_f
		.amdhsa_group_segment_fixed_size 0
		.amdhsa_private_segment_fixed_size 0
		.amdhsa_kernarg_size 280
		.amdhsa_user_sgpr_count 6
		.amdhsa_user_sgpr_private_segment_buffer 1
		.amdhsa_user_sgpr_dispatch_ptr 0
		.amdhsa_user_sgpr_queue_ptr 0
		.amdhsa_user_sgpr_kernarg_segment_ptr 1
		.amdhsa_user_sgpr_dispatch_id 0
		.amdhsa_user_sgpr_flat_scratch_init 0
		.amdhsa_user_sgpr_kernarg_preload_length 0
		.amdhsa_user_sgpr_kernarg_preload_offset 0
		.amdhsa_user_sgpr_private_segment_size 0
		.amdhsa_uses_dynamic_stack 0
		.amdhsa_system_sgpr_private_segment_wavefront_offset 0
		.amdhsa_system_sgpr_workgroup_id_x 1
		.amdhsa_system_sgpr_workgroup_id_y 0
		.amdhsa_system_sgpr_workgroup_id_z 0
		.amdhsa_system_sgpr_workgroup_info 0
		.amdhsa_system_vgpr_workitem_id 0
		.amdhsa_next_free_vgpr 22
		.amdhsa_next_free_sgpr 20
		.amdhsa_accum_offset 24
		.amdhsa_reserve_vcc 1
		.amdhsa_reserve_flat_scratch 0
		.amdhsa_float_round_mode_32 0
		.amdhsa_float_round_mode_16_64 0
		.amdhsa_float_denorm_mode_32 3
		.amdhsa_float_denorm_mode_16_64 3
		.amdhsa_dx10_clamp 1
		.amdhsa_ieee_mode 1
		.amdhsa_fp16_overflow 0
		.amdhsa_tg_split 0
		.amdhsa_exception_fp_ieee_invalid_op 0
		.amdhsa_exception_fp_denorm_src 0
		.amdhsa_exception_fp_ieee_div_zero 0
		.amdhsa_exception_fp_ieee_overflow 0
		.amdhsa_exception_fp_ieee_underflow 0
		.amdhsa_exception_fp_ieee_inexact 0
		.amdhsa_exception_int_div_zero 0
	.end_amdhsa_kernel
	.text
.Lfunc_end3:
	.size	_Z12fp_preact_c1PA28_fPA24_A24_fPA5_A5_f, .Lfunc_end3-_Z12fp_preact_c1PA28_fPA24_A24_fPA5_A5_f
                                        ; -- End function
	.section	.AMDGPU.csdata,"",@progbits
; Kernel info:
; codeLenInByte = 816
; NumSgprs: 24
; NumVgprs: 22
; NumAgprs: 0
; TotalNumVgprs: 22
; ScratchSize: 0
; MemoryBound: 0
; FloatMode: 240
; IeeeMode: 1
; LDSByteSize: 0 bytes/workgroup (compile time only)
; SGPRBlocks: 2
; VGPRBlocks: 2
; NumSGPRsForWavesPerEU: 24
; NumVGPRsForWavesPerEU: 22
; AccumOffset: 24
; Occupancy: 8
; WaveLimiterHint : 0
; COMPUTE_PGM_RSRC2:SCRATCH_EN: 0
; COMPUTE_PGM_RSRC2:USER_SGPR: 6
; COMPUTE_PGM_RSRC2:TRAP_HANDLER: 0
; COMPUTE_PGM_RSRC2:TGID_X_EN: 1
; COMPUTE_PGM_RSRC2:TGID_Y_EN: 0
; COMPUTE_PGM_RSRC2:TGID_Z_EN: 0
; COMPUTE_PGM_RSRC2:TIDIG_COMP_CNT: 0
; COMPUTE_PGM_RSRC3_GFX90A:ACCUM_OFFSET: 5
; COMPUTE_PGM_RSRC3_GFX90A:TG_SPLIT: 0
	.text
	.protected	_Z10fp_bias_c1PA24_A24_fPf ; -- Begin function _Z10fp_bias_c1PA24_A24_fPf
	.globl	_Z10fp_bias_c1PA24_A24_fPf
	.p2align	8
	.type	_Z10fp_bias_c1PA24_A24_fPf,@function
_Z10fp_bias_c1PA24_A24_fPf:             ; @_Z10fp_bias_c1PA24_A24_fPf
; %bb.0:
	s_load_dword s0, s[4:5], 0x1c
	s_load_dword s1, s[4:5], 0x10
	s_movk_i32 s2, 0xd80
	s_waitcnt lgkmcnt(0)
	s_and_b32 s0, s0, 0xffff
	s_mul_i32 s1, s1, s0
	s_abs_i32 s3, s1
	v_cvt_f32_u32_e32 v1, s3
	s_mul_i32 s6, s6, s0
	v_add_u32_e32 v0, s6, v0
	s_ashr_i32 s0, s1, 31
	v_rcp_iflag_f32_e32 v1, v1
	s_sub_i32 s1, 0, s3
	v_mul_lo_u32 v2, v0, s2
	v_sub_u32_e32 v3, 0, v2
	v_mul_f32_e32 v1, 0x4f7ffffe, v1
	v_cvt_u32_f32_e32 v1, v1
	v_max_i32_e32 v3, v2, v3
	v_ashrrev_i32_e32 v0, 31, v2
	v_xor_b32_e32 v0, s0, v0
	v_mul_lo_u32 v4, s1, v1
	v_mul_hi_u32 v4, v1, v4
	v_add_u32_e32 v1, v1, v4
	v_mul_hi_u32 v4, v3, v1
	v_mul_lo_u32 v5, v4, s3
	v_sub_u32_e32 v3, v3, v5
	v_add_u32_e32 v5, 1, v4
	v_cmp_le_u32_e32 vcc, s3, v3
	v_cndmask_b32_e32 v4, v4, v5, vcc
	v_subrev_u32_e32 v5, s3, v3
	v_cndmask_b32_e32 v3, v3, v5, vcc
	v_add_u32_e32 v5, 1, v4
	v_cmp_le_u32_e32 vcc, s3, v3
	v_cndmask_b32_e32 v3, v4, v5, vcc
	v_add_u32_e32 v2, 0xd80, v2
	v_xor_b32_e32 v3, v3, v0
	v_sub_u32_e32 v4, 0, v2
	v_sub_u32_e32 v0, v3, v0
	v_ashrrev_i32_e32 v3, 31, v2
	v_max_i32_e32 v2, v2, v4
	v_mul_hi_u32 v1, v2, v1
	v_mul_lo_u32 v4, v1, s3
	v_sub_u32_e32 v2, v2, v4
	v_add_u32_e32 v4, 1, v1
	v_cmp_le_u32_e32 vcc, s3, v2
	v_cndmask_b32_e32 v1, v1, v4, vcc
	v_subrev_u32_e32 v4, s3, v2
	v_cndmask_b32_e32 v2, v2, v4, vcc
	v_add_u32_e32 v4, 1, v1
	v_cmp_le_u32_e32 vcc, s3, v2
	v_xor_b32_e32 v3, s0, v3
	v_cndmask_b32_e32 v1, v1, v4, vcc
	v_xor_b32_e32 v1, v1, v3
	v_sub_u32_e32 v1, v1, v3
	v_cmp_lt_i32_e32 vcc, v0, v1
	s_and_saveexec_b64 s[0:1], vcc
	s_cbranch_execz .LBB4_3
; %bb.1:
	s_load_dwordx4 s[0:3], s[4:5], 0x0
	s_mov_b64 s[4:5], 0
	s_mov_b32 s6, 0x2aaaaaab
	s_mov_b32 s7, 0x38e38e39
	s_movk_i32 s8, 0x900
	s_waitcnt lgkmcnt(0)
	v_mov_b32_e32 v4, s3
	v_pk_mov_b32 v[2:3], s[0:1], s[0:1] op_sel:[0,1]
	s_movk_i32 s0, 0x60
.LBB4_2:                                ; =>This Inner Loop Header: Depth=1
	v_mul_hi_i32 v5, v0, s6
	v_mul_hi_i32 v6, v0, s7
	v_lshrrev_b32_e32 v7, 31, v5
	v_lshrrev_b32_e32 v8, 31, v6
	v_ashrrev_i32_e32 v6, 5, v6
	v_add_u32_e32 v5, v5, v7
	v_add_u32_e32 v10, v6, v8
	v_mad_u64_u32 v[6:7], s[10:11], v5, -6, v[0:1]
	v_mul_hi_i32 v7, v5, s6
	v_mul_hi_i32 v8, v10, s6
	v_lshrrev_b32_e32 v11, 31, v7
	v_lshrrev_b32_e32 v12, 2, v7
	;; [unrolled: 1-line block ×4, first 2 shown]
	v_ashrrev_i32_e32 v7, 31, v6
	v_add_u32_e32 v11, v12, v11
	v_add_u32_e32 v12, v14, v13
	v_mad_i64_i32 v[8:9], s[10:11], v6, s8, v[2:3]
	v_lshlrev_b64 v[6:7], 2, v[6:7]
	v_mul_lo_u32 v12, v12, 24
	v_mul_lo_u32 v11, v11, 24
	v_add_co_u32_e32 v6, vcc, s2, v6
	v_sub_u32_e32 v10, v10, v12
	v_addc_co_u32_e32 v7, vcc, v4, v7, vcc
	v_sub_u32_e32 v5, v5, v11
	v_ashrrev_i32_e32 v11, 31, v10
	global_load_dword v12, v[6:7], off
	v_mad_i64_i32 v[6:7], s[10:11], v5, s0, v[8:9]
	v_lshlrev_b64 v[8:9], 2, v[10:11]
	v_add_co_u32_e32 v6, vcc, v6, v8
	v_addc_co_u32_e32 v7, vcc, v7, v9, vcc
	global_load_dword v5, v[6:7], off
	v_add_u32_e32 v0, 1, v0
	v_cmp_ge_i32_e32 vcc, v0, v1
	s_or_b64 s[4:5], vcc, s[4:5]
	s_waitcnt vmcnt(0)
	v_add_f32_e32 v5, v12, v5
	global_store_dword v[6:7], v5, off
	s_andn2_b64 exec, exec, s[4:5]
	s_cbranch_execnz .LBB4_2
.LBB4_3:
	s_endpgm
	.section	.rodata,"a",@progbits
	.p2align	6, 0x0
	.amdhsa_kernel _Z10fp_bias_c1PA24_A24_fPf
		.amdhsa_group_segment_fixed_size 0
		.amdhsa_private_segment_fixed_size 0
		.amdhsa_kernarg_size 272
		.amdhsa_user_sgpr_count 6
		.amdhsa_user_sgpr_private_segment_buffer 1
		.amdhsa_user_sgpr_dispatch_ptr 0
		.amdhsa_user_sgpr_queue_ptr 0
		.amdhsa_user_sgpr_kernarg_segment_ptr 1
		.amdhsa_user_sgpr_dispatch_id 0
		.amdhsa_user_sgpr_flat_scratch_init 0
		.amdhsa_user_sgpr_kernarg_preload_length 0
		.amdhsa_user_sgpr_kernarg_preload_offset 0
		.amdhsa_user_sgpr_private_segment_size 0
		.amdhsa_uses_dynamic_stack 0
		.amdhsa_system_sgpr_private_segment_wavefront_offset 0
		.amdhsa_system_sgpr_workgroup_id_x 1
		.amdhsa_system_sgpr_workgroup_id_y 0
		.amdhsa_system_sgpr_workgroup_id_z 0
		.amdhsa_system_sgpr_workgroup_info 0
		.amdhsa_system_vgpr_workitem_id 0
		.amdhsa_next_free_vgpr 15
		.amdhsa_next_free_sgpr 12
		.amdhsa_accum_offset 16
		.amdhsa_reserve_vcc 1
		.amdhsa_reserve_flat_scratch 0
		.amdhsa_float_round_mode_32 0
		.amdhsa_float_round_mode_16_64 0
		.amdhsa_float_denorm_mode_32 3
		.amdhsa_float_denorm_mode_16_64 3
		.amdhsa_dx10_clamp 1
		.amdhsa_ieee_mode 1
		.amdhsa_fp16_overflow 0
		.amdhsa_tg_split 0
		.amdhsa_exception_fp_ieee_invalid_op 0
		.amdhsa_exception_fp_denorm_src 0
		.amdhsa_exception_fp_ieee_div_zero 0
		.amdhsa_exception_fp_ieee_overflow 0
		.amdhsa_exception_fp_ieee_underflow 0
		.amdhsa_exception_fp_ieee_inexact 0
		.amdhsa_exception_int_div_zero 0
	.end_amdhsa_kernel
	.text
.Lfunc_end4:
	.size	_Z10fp_bias_c1PA24_A24_fPf, .Lfunc_end4-_Z10fp_bias_c1PA24_A24_fPf
                                        ; -- End function
	.section	.AMDGPU.csdata,"",@progbits
; Kernel info:
; codeLenInByte = 548
; NumSgprs: 16
; NumVgprs: 15
; NumAgprs: 0
; TotalNumVgprs: 15
; ScratchSize: 0
; MemoryBound: 0
; FloatMode: 240
; IeeeMode: 1
; LDSByteSize: 0 bytes/workgroup (compile time only)
; SGPRBlocks: 1
; VGPRBlocks: 1
; NumSGPRsForWavesPerEU: 16
; NumVGPRsForWavesPerEU: 15
; AccumOffset: 16
; Occupancy: 8
; WaveLimiterHint : 0
; COMPUTE_PGM_RSRC2:SCRATCH_EN: 0
; COMPUTE_PGM_RSRC2:USER_SGPR: 6
; COMPUTE_PGM_RSRC2:TRAP_HANDLER: 0
; COMPUTE_PGM_RSRC2:TGID_X_EN: 1
; COMPUTE_PGM_RSRC2:TGID_Y_EN: 0
; COMPUTE_PGM_RSRC2:TGID_Z_EN: 0
; COMPUTE_PGM_RSRC2:TIDIG_COMP_CNT: 0
; COMPUTE_PGM_RSRC3_GFX90A:ACCUM_OFFSET: 3
; COMPUTE_PGM_RSRC3_GFX90A:TG_SPLIT: 0
	.text
	.protected	_Z12fp_preact_s1PA24_A24_fPA6_A6_fPA4_A4_f ; -- Begin function _Z12fp_preact_s1PA24_A24_fPA6_A6_fPA4_A4_f
	.globl	_Z12fp_preact_s1PA24_A24_fPA6_A6_fPA4_A4_f
	.p2align	8
	.type	_Z12fp_preact_s1PA24_A24_fPA6_A6_fPA4_A4_f,@function
_Z12fp_preact_s1PA24_A24_fPA6_A6_fPA4_A4_f: ; @_Z12fp_preact_s1PA24_A24_fPA6_A6_fPA4_A4_f
; %bb.0:
	s_load_dword s0, s[4:5], 0x24
	s_load_dword s1, s[4:5], 0x18
	s_movk_i32 s2, 0xd80
	s_waitcnt lgkmcnt(0)
	s_and_b32 s0, s0, 0xffff
	s_mul_i32 s1, s1, s0
	s_abs_i32 s3, s1
	v_cvt_f32_u32_e32 v1, s3
	s_mul_i32 s6, s6, s0
	v_add_u32_e32 v0, s6, v0
	s_ashr_i32 s0, s1, 31
	v_rcp_iflag_f32_e32 v1, v1
	s_sub_i32 s1, 0, s3
	v_mul_lo_u32 v0, v0, s2
	v_sub_u32_e32 v3, 0, v0
	v_mul_f32_e32 v1, 0x4f7ffffe, v1
	v_cvt_u32_f32_e32 v1, v1
	v_max_i32_e32 v3, v0, v3
	v_ashrrev_i32_e32 v2, 31, v0
	v_xor_b32_e32 v2, s0, v2
	v_mul_lo_u32 v4, s1, v1
	v_mul_hi_u32 v4, v1, v4
	v_add_u32_e32 v1, v1, v4
	v_mul_hi_u32 v4, v3, v1
	v_mul_lo_u32 v5, v4, s3
	v_sub_u32_e32 v3, v3, v5
	v_add_u32_e32 v5, 1, v4
	v_cmp_le_u32_e32 vcc, s3, v3
	v_cndmask_b32_e32 v4, v4, v5, vcc
	v_subrev_u32_e32 v5, s3, v3
	v_cndmask_b32_e32 v3, v3, v5, vcc
	v_add_u32_e32 v5, 1, v4
	v_cmp_le_u32_e32 vcc, s3, v3
	v_cndmask_b32_e32 v3, v4, v5, vcc
	v_xor_b32_e32 v3, v3, v2
	v_add_u32_e32 v0, 0xd80, v0
	v_sub_u32_e32 v8, v3, v2
	v_sub_u32_e32 v3, 0, v0
	v_ashrrev_i32_e32 v2, 31, v0
	v_max_i32_e32 v0, v0, v3
	v_mul_hi_u32 v1, v0, v1
	v_mul_lo_u32 v3, v1, s3
	v_sub_u32_e32 v0, v0, v3
	v_add_u32_e32 v3, 1, v1
	v_cmp_le_u32_e32 vcc, s3, v0
	v_cndmask_b32_e32 v1, v1, v3, vcc
	v_subrev_u32_e32 v3, s3, v0
	v_cndmask_b32_e32 v0, v0, v3, vcc
	v_add_u32_e32 v3, 1, v1
	v_cmp_le_u32_e32 vcc, s3, v0
	v_xor_b32_e32 v2, s0, v2
	v_cndmask_b32_e32 v0, v1, v3, vcc
	v_xor_b32_e32 v0, v0, v2
	v_sub_u32_e32 v9, v0, v2
	v_cmp_lt_i32_e32 vcc, v8, v9
	s_and_saveexec_b64 s[0:1], vcc
	s_cbranch_execz .LBB5_5
; %bb.1:
	s_load_dwordx4 s[12:15], s[4:5], 0x0
	s_load_dwordx2 s[0:1], s[4:5], 0x10
	s_mov_b64 s[2:3], 0
	s_mov_b32 s6, 0x2aaaaaab
	s_mov_b32 s7, 0x38e38e39
	s_movk_i32 s8, 0x90
	s_waitcnt lgkmcnt(0)
	v_pk_mov_b32 v[0:1], s[14:15], s[14:15] op_sel:[0,1]
	v_mov_b32_e32 v10, s1
	s_movk_i32 s1, 0x900
	v_pk_mov_b32 v[2:3], s[12:13], s[12:13] op_sel:[0,1]
	s_movk_i32 s9, 0x60
.LBB5_2:                                ; =>This Loop Header: Depth=1
                                        ;     Child Loop BB5_3 Depth 2
	v_ashrrev_i32_e32 v5, 31, v8
	v_lshrrev_b32_e32 v4, 30, v5
	v_add_u32_e32 v4, v8, v4
	v_ashrrev_i32_e32 v6, 2, v4
	v_lshrrev_b32_e32 v7, 30, v6
	v_lshrrev_b32_e32 v5, 28, v5
	v_add_u32_e32 v7, v6, v7
	v_add_u32_e32 v5, v8, v5
	v_and_b32_e32 v7, -4, v7
	v_ashrrev_i32_e32 v5, 4, v5
	v_sub_u32_e32 v6, v6, v7
	v_mul_hi_i32 v7, v5, s6
	v_lshrrev_b32_e32 v11, 31, v7
	v_add_u32_e32 v7, v7, v11
	v_mul_lo_u32 v7, v7, 6
	v_sub_u32_e32 v11, v5, v7
	v_mul_hi_i32 v5, v8, s6
	v_lshrrev_b32_e32 v7, 31, v5
	v_ashrrev_i32_e32 v5, 4, v5
	v_add_u32_e32 v5, v5, v7
	v_mul_hi_i32 v7, v5, s6
	v_lshrrev_b32_e32 v12, 31, v7
	v_add_u32_e32 v7, v7, v12
	v_mul_lo_u32 v7, v7, 6
	v_sub_u32_e32 v22, v5, v7
	v_mul_hi_i32 v5, v8, s7
	v_lshrrev_b32_e32 v7, 31, v5
	v_ashrrev_i32_e32 v5, 7, v5
	v_add_u32_e32 v5, v5, v7
	v_mul_hi_i32 v7, v5, s6
	v_lshrrev_b32_e32 v12, 31, v7
	v_and_b32_e32 v4, -4, v4
	v_add_u32_e32 v7, v7, v12
	v_sub_u32_e32 v4, v8, v4
	v_mul_lo_u32 v7, v7, 6
	v_sub_u32_e32 v12, v5, v7
	v_ashrrev_i32_e32 v5, 31, v4
	v_lshlrev_b64 v[20:21], 4, v[4:5]
	v_ashrrev_i32_e32 v7, 31, v6
	v_add_co_u32_e32 v5, vcc, s0, v20
	v_lshlrev_b64 v[18:19], 2, v[6:7]
	v_addc_co_u32_e32 v7, vcc, v10, v21, vcc
	v_add_co_u32_e32 v18, vcc, v5, v18
	v_ashrrev_i32_e32 v13, 31, v12
	v_addc_co_u32_e32 v19, vcc, v7, v19, vcc
	v_lshlrev_b64 v[14:15], 2, v[12:13]
	global_load_dword v13, v[18:19], off
	v_lshl_add_u32 v18, v22, 2, v4
	v_lshl_add_u32 v4, v12, 2, v6
	v_ashrrev_i32_e32 v5, 31, v4
	v_mad_i64_i32 v[6:7], s[4:5], v11, s1, v[2:3]
	v_lshlrev_b64 v[4:5], 2, v[4:5]
	v_mad_i64_i32 v[6:7], s[4:5], v18, s9, v[6:7]
	v_mad_i64_i32 v[16:17], s[4:5], v11, s8, v[0:1]
	v_add_co_u32_e32 v4, vcc, v6, v4
	v_mad_i64_i32 v[16:17], s[4:5], v22, 24, v[16:17]
	v_addc_co_u32_e32 v5, vcc, v7, v5, vcc
	global_load_dword v6, v[4:5], off
	v_add_co_u32_e32 v4, vcc, v16, v14
	v_addc_co_u32_e32 v5, vcc, v17, v15, vcc
	global_load_dword v7, v[4:5], off
	s_mov_b64 s[4:5], 0
	s_waitcnt vmcnt(1)
	v_mul_f32_e32 v11, v13, v6
.LBB5_3:                                ;   Parent Loop BB5_2 Depth=1
                                        ; =>  This Inner Loop Header: Depth=2
	s_waitcnt vmcnt(0)
	v_add_f32_e32 v6, v7, v11
	global_atomic_cmpswap v6, v[4:5], v[6:7], off glc
	s_waitcnt vmcnt(0)
	v_cmp_eq_u32_e32 vcc, v6, v7
	s_or_b64 s[4:5], vcc, s[4:5]
	v_mov_b32_e32 v7, v6
	s_andn2_b64 exec, exec, s[4:5]
	s_cbranch_execnz .LBB5_3
; %bb.4:                                ;   in Loop: Header=BB5_2 Depth=1
	s_or_b64 exec, exec, s[4:5]
	v_add_u32_e32 v8, 1, v8
	v_cmp_ge_i32_e32 vcc, v8, v9
	s_or_b64 s[2:3], vcc, s[2:3]
	s_andn2_b64 exec, exec, s[2:3]
	s_cbranch_execnz .LBB5_2
.LBB5_5:
	s_endpgm
	.section	.rodata,"a",@progbits
	.p2align	6, 0x0
	.amdhsa_kernel _Z12fp_preact_s1PA24_A24_fPA6_A6_fPA4_A4_f
		.amdhsa_group_segment_fixed_size 0
		.amdhsa_private_segment_fixed_size 0
		.amdhsa_kernarg_size 280
		.amdhsa_user_sgpr_count 6
		.amdhsa_user_sgpr_private_segment_buffer 1
		.amdhsa_user_sgpr_dispatch_ptr 0
		.amdhsa_user_sgpr_queue_ptr 0
		.amdhsa_user_sgpr_kernarg_segment_ptr 1
		.amdhsa_user_sgpr_dispatch_id 0
		.amdhsa_user_sgpr_flat_scratch_init 0
		.amdhsa_user_sgpr_kernarg_preload_length 0
		.amdhsa_user_sgpr_kernarg_preload_offset 0
		.amdhsa_user_sgpr_private_segment_size 0
		.amdhsa_uses_dynamic_stack 0
		.amdhsa_system_sgpr_private_segment_wavefront_offset 0
		.amdhsa_system_sgpr_workgroup_id_x 1
		.amdhsa_system_sgpr_workgroup_id_y 0
		.amdhsa_system_sgpr_workgroup_id_z 0
		.amdhsa_system_sgpr_workgroup_info 0
		.amdhsa_system_vgpr_workitem_id 0
		.amdhsa_next_free_vgpr 23
		.amdhsa_next_free_sgpr 16
		.amdhsa_accum_offset 24
		.amdhsa_reserve_vcc 1
		.amdhsa_reserve_flat_scratch 0
		.amdhsa_float_round_mode_32 0
		.amdhsa_float_round_mode_16_64 0
		.amdhsa_float_denorm_mode_32 3
		.amdhsa_float_denorm_mode_16_64 3
		.amdhsa_dx10_clamp 1
		.amdhsa_ieee_mode 1
		.amdhsa_fp16_overflow 0
		.amdhsa_tg_split 0
		.amdhsa_exception_fp_ieee_invalid_op 0
		.amdhsa_exception_fp_denorm_src 0
		.amdhsa_exception_fp_ieee_div_zero 0
		.amdhsa_exception_fp_ieee_overflow 0
		.amdhsa_exception_fp_ieee_underflow 0
		.amdhsa_exception_fp_ieee_inexact 0
		.amdhsa_exception_int_div_zero 0
	.end_amdhsa_kernel
	.text
.Lfunc_end5:
	.size	_Z12fp_preact_s1PA24_A24_fPA6_A6_fPA4_A4_f, .Lfunc_end5-_Z12fp_preact_s1PA24_A24_fPA6_A6_fPA4_A4_f
                                        ; -- End function
	.section	.AMDGPU.csdata,"",@progbits
; Kernel info:
; codeLenInByte = 756
; NumSgprs: 20
; NumVgprs: 23
; NumAgprs: 0
; TotalNumVgprs: 23
; ScratchSize: 0
; MemoryBound: 0
; FloatMode: 240
; IeeeMode: 1
; LDSByteSize: 0 bytes/workgroup (compile time only)
; SGPRBlocks: 2
; VGPRBlocks: 2
; NumSGPRsForWavesPerEU: 20
; NumVGPRsForWavesPerEU: 23
; AccumOffset: 24
; Occupancy: 8
; WaveLimiterHint : 0
; COMPUTE_PGM_RSRC2:SCRATCH_EN: 0
; COMPUTE_PGM_RSRC2:USER_SGPR: 6
; COMPUTE_PGM_RSRC2:TRAP_HANDLER: 0
; COMPUTE_PGM_RSRC2:TGID_X_EN: 1
; COMPUTE_PGM_RSRC2:TGID_Y_EN: 0
; COMPUTE_PGM_RSRC2:TGID_Z_EN: 0
; COMPUTE_PGM_RSRC2:TIDIG_COMP_CNT: 0
; COMPUTE_PGM_RSRC3_GFX90A:ACCUM_OFFSET: 5
; COMPUTE_PGM_RSRC3_GFX90A:TG_SPLIT: 0
	.text
	.protected	_Z10fp_bias_s1PA6_A6_fPf ; -- Begin function _Z10fp_bias_s1PA6_A6_fPf
	.globl	_Z10fp_bias_s1PA6_A6_fPf
	.p2align	8
	.type	_Z10fp_bias_s1PA6_A6_fPf,@function
_Z10fp_bias_s1PA6_A6_fPf:               ; @_Z10fp_bias_s1PA6_A6_fPf
; %bb.0:
	s_load_dword s0, s[4:5], 0x1c
	s_load_dword s1, s[4:5], 0x10
	s_movk_i32 s2, 0xd8
	s_waitcnt lgkmcnt(0)
	s_and_b32 s0, s0, 0xffff
	s_mul_i32 s1, s1, s0
	s_abs_i32 s3, s1
	v_cvt_f32_u32_e32 v1, s3
	s_mul_i32 s6, s6, s0
	v_add_u32_e32 v0, s6, v0
	s_ashr_i32 s0, s1, 31
	v_rcp_iflag_f32_e32 v1, v1
	s_sub_i32 s1, 0, s3
	v_mul_lo_u32 v2, v0, s2
	v_sub_u32_e32 v3, 0, v2
	v_mul_f32_e32 v1, 0x4f7ffffe, v1
	v_cvt_u32_f32_e32 v1, v1
	v_max_i32_e32 v3, v2, v3
	v_ashrrev_i32_e32 v0, 31, v2
	v_xor_b32_e32 v0, s0, v0
	v_mul_lo_u32 v4, s1, v1
	v_mul_hi_u32 v4, v1, v4
	v_add_u32_e32 v1, v1, v4
	v_mul_hi_u32 v4, v3, v1
	v_mul_lo_u32 v5, v4, s3
	v_sub_u32_e32 v3, v3, v5
	v_add_u32_e32 v5, 1, v4
	v_cmp_le_u32_e32 vcc, s3, v3
	v_cndmask_b32_e32 v4, v4, v5, vcc
	v_subrev_u32_e32 v5, s3, v3
	v_cndmask_b32_e32 v3, v3, v5, vcc
	v_add_u32_e32 v5, 1, v4
	v_cmp_le_u32_e32 vcc, s3, v3
	v_cndmask_b32_e32 v3, v4, v5, vcc
	v_add_u32_e32 v2, 0xd8, v2
	v_xor_b32_e32 v3, v3, v0
	v_sub_u32_e32 v4, 0, v2
	v_sub_u32_e32 v0, v3, v0
	v_ashrrev_i32_e32 v3, 31, v2
	v_max_i32_e32 v2, v2, v4
	v_mul_hi_u32 v1, v2, v1
	v_mul_lo_u32 v4, v1, s3
	v_sub_u32_e32 v2, v2, v4
	v_add_u32_e32 v4, 1, v1
	v_cmp_le_u32_e32 vcc, s3, v2
	v_cndmask_b32_e32 v1, v1, v4, vcc
	v_subrev_u32_e32 v4, s3, v2
	v_cndmask_b32_e32 v2, v2, v4, vcc
	v_add_u32_e32 v4, 1, v1
	v_cmp_le_u32_e32 vcc, s3, v2
	v_xor_b32_e32 v3, s0, v3
	v_cndmask_b32_e32 v1, v1, v4, vcc
	v_xor_b32_e32 v1, v1, v3
	v_sub_u32_e32 v1, v1, v3
	v_cmp_lt_i32_e32 vcc, v0, v1
	s_and_saveexec_b64 s[0:1], vcc
	s_cbranch_execz .LBB6_3
; %bb.1:
	s_load_dwordx4 s[0:3], s[4:5], 0x0
	s_mov_b64 s[4:5], 0
	s_mov_b32 s6, 0x2aaaaaab
	s_mov_b32 s7, 0x38e38e39
	v_mov_b32_e32 v4, 0
	s_movk_i32 s8, 0x90
	s_waitcnt lgkmcnt(0)
	v_pk_mov_b32 v[2:3], s[0:1], s[0:1] op_sel:[0,1]
.LBB6_2:                                ; =>This Inner Loop Header: Depth=1
	v_mul_hi_i32 v6, v0, s7
	v_mul_hi_i32 v5, v0, s6
	v_lshrrev_b32_e32 v8, 31, v6
	v_ashrrev_i32_e32 v6, 3, v6
	v_lshrrev_b32_e32 v7, 31, v5
	v_add_u32_e32 v8, v6, v8
	v_add_u32_e32 v5, v5, v7
	v_mul_hi_i32 v11, v8, s6
	v_mul_hi_i32 v9, v5, s6
	v_lshrrev_b32_e32 v13, 31, v11
	v_lshrrev_b32_e32 v12, 31, v9
	v_add_u32_e32 v11, v11, v13
	v_add_u32_e32 v9, v9, v12
	v_mul_lo_u32 v11, v11, 6
	v_mad_u64_u32 v[6:7], s[0:1], v5, -6, v[0:1]
	v_mul_lo_u32 v9, v9, 6
	v_sub_u32_e32 v8, v8, v11
	v_mad_i64_i32 v[6:7], s[0:1], v6, s8, v[2:3]
	v_sub_u32_e32 v5, v5, v9
	v_ashrrev_i32_e32 v9, 31, v8
	v_mad_i64_i32 v[6:7], s[0:1], v5, 24, v[6:7]
	v_lshlrev_b64 v[8:9], 2, v[8:9]
	v_add_co_u32_e32 v6, vcc, v6, v8
	v_addc_co_u32_e32 v7, vcc, v7, v9, vcc
	global_load_dword v10, v4, s[2:3]
	global_load_dword v5, v[6:7], off
	v_add_u32_e32 v0, 1, v0
	v_cmp_ge_i32_e32 vcc, v0, v1
	s_or_b64 s[4:5], vcc, s[4:5]
	s_waitcnt vmcnt(0)
	v_add_f32_e32 v5, v10, v5
	global_store_dword v[6:7], v5, off
	s_andn2_b64 exec, exec, s[4:5]
	s_cbranch_execnz .LBB6_2
.LBB6_3:
	s_endpgm
	.section	.rodata,"a",@progbits
	.p2align	6, 0x0
	.amdhsa_kernel _Z10fp_bias_s1PA6_A6_fPf
		.amdhsa_group_segment_fixed_size 0
		.amdhsa_private_segment_fixed_size 0
		.amdhsa_kernarg_size 272
		.amdhsa_user_sgpr_count 6
		.amdhsa_user_sgpr_private_segment_buffer 1
		.amdhsa_user_sgpr_dispatch_ptr 0
		.amdhsa_user_sgpr_queue_ptr 0
		.amdhsa_user_sgpr_kernarg_segment_ptr 1
		.amdhsa_user_sgpr_dispatch_id 0
		.amdhsa_user_sgpr_flat_scratch_init 0
		.amdhsa_user_sgpr_kernarg_preload_length 0
		.amdhsa_user_sgpr_kernarg_preload_offset 0
		.amdhsa_user_sgpr_private_segment_size 0
		.amdhsa_uses_dynamic_stack 0
		.amdhsa_system_sgpr_private_segment_wavefront_offset 0
		.amdhsa_system_sgpr_workgroup_id_x 1
		.amdhsa_system_sgpr_workgroup_id_y 0
		.amdhsa_system_sgpr_workgroup_id_z 0
		.amdhsa_system_sgpr_workgroup_info 0
		.amdhsa_system_vgpr_workitem_id 0
		.amdhsa_next_free_vgpr 14
		.amdhsa_next_free_sgpr 9
		.amdhsa_accum_offset 16
		.amdhsa_reserve_vcc 1
		.amdhsa_reserve_flat_scratch 0
		.amdhsa_float_round_mode_32 0
		.amdhsa_float_round_mode_16_64 0
		.amdhsa_float_denorm_mode_32 3
		.amdhsa_float_denorm_mode_16_64 3
		.amdhsa_dx10_clamp 1
		.amdhsa_ieee_mode 1
		.amdhsa_fp16_overflow 0
		.amdhsa_tg_split 0
		.amdhsa_exception_fp_ieee_invalid_op 0
		.amdhsa_exception_fp_denorm_src 0
		.amdhsa_exception_fp_ieee_div_zero 0
		.amdhsa_exception_fp_ieee_overflow 0
		.amdhsa_exception_fp_ieee_underflow 0
		.amdhsa_exception_fp_ieee_inexact 0
		.amdhsa_exception_int_div_zero 0
	.end_amdhsa_kernel
	.text
.Lfunc_end6:
	.size	_Z10fp_bias_s1PA6_A6_fPf, .Lfunc_end6-_Z10fp_bias_s1PA6_A6_fPf
                                        ; -- End function
	.section	.AMDGPU.csdata,"",@progbits
; Kernel info:
; codeLenInByte = 516
; NumSgprs: 13
; NumVgprs: 14
; NumAgprs: 0
; TotalNumVgprs: 14
; ScratchSize: 0
; MemoryBound: 0
; FloatMode: 240
; IeeeMode: 1
; LDSByteSize: 0 bytes/workgroup (compile time only)
; SGPRBlocks: 1
; VGPRBlocks: 1
; NumSGPRsForWavesPerEU: 13
; NumVGPRsForWavesPerEU: 14
; AccumOffset: 16
; Occupancy: 8
; WaveLimiterHint : 0
; COMPUTE_PGM_RSRC2:SCRATCH_EN: 0
; COMPUTE_PGM_RSRC2:USER_SGPR: 6
; COMPUTE_PGM_RSRC2:TRAP_HANDLER: 0
; COMPUTE_PGM_RSRC2:TGID_X_EN: 1
; COMPUTE_PGM_RSRC2:TGID_Y_EN: 0
; COMPUTE_PGM_RSRC2:TGID_Z_EN: 0
; COMPUTE_PGM_RSRC2:TIDIG_COMP_CNT: 0
; COMPUTE_PGM_RSRC3_GFX90A:ACCUM_OFFSET: 3
; COMPUTE_PGM_RSRC3_GFX90A:TG_SPLIT: 0
	.text
	.protected	_Z11fp_preact_fPA6_A6_fPfPA6_S0_ ; -- Begin function _Z11fp_preact_fPA6_A6_fPfPA6_S0_
	.globl	_Z11fp_preact_fPA6_A6_fPfPA6_S0_
	.p2align	8
	.type	_Z11fp_preact_fPA6_A6_fPfPA6_S0_,@function
_Z11fp_preact_fPA6_A6_fPfPA6_S0_:       ; @_Z11fp_preact_fPA6_A6_fPfPA6_S0_
; %bb.0:
	s_load_dword s0, s[4:5], 0x24
	s_load_dword s1, s[4:5], 0x18
	s_movk_i32 s2, 0x870
	s_waitcnt lgkmcnt(0)
	s_and_b32 s0, s0, 0xffff
	s_mul_i32 s1, s1, s0
	s_abs_i32 s3, s1
	v_cvt_f32_u32_e32 v1, s3
	s_mul_i32 s6, s6, s0
	v_add_u32_e32 v0, s6, v0
	s_ashr_i32 s0, s1, 31
	v_rcp_iflag_f32_e32 v1, v1
	s_sub_i32 s1, 0, s3
	v_mul_lo_u32 v0, v0, s2
	v_sub_u32_e32 v3, 0, v0
	v_mul_f32_e32 v1, 0x4f7ffffe, v1
	v_cvt_u32_f32_e32 v1, v1
	v_max_i32_e32 v3, v0, v3
	v_ashrrev_i32_e32 v2, 31, v0
	v_xor_b32_e32 v2, s0, v2
	v_mul_lo_u32 v4, s1, v1
	v_mul_hi_u32 v4, v1, v4
	v_add_u32_e32 v1, v1, v4
	v_mul_hi_u32 v4, v3, v1
	v_mul_lo_u32 v5, v4, s3
	v_sub_u32_e32 v3, v3, v5
	v_add_u32_e32 v5, 1, v4
	v_cmp_le_u32_e32 vcc, s3, v3
	v_cndmask_b32_e32 v4, v4, v5, vcc
	v_subrev_u32_e32 v5, s3, v3
	v_cndmask_b32_e32 v3, v3, v5, vcc
	v_add_u32_e32 v5, 1, v4
	v_cmp_le_u32_e32 vcc, s3, v3
	v_cndmask_b32_e32 v3, v4, v5, vcc
	v_xor_b32_e32 v3, v3, v2
	v_add_u32_e32 v0, 0x870, v0
	v_sub_u32_e32 v8, v3, v2
	v_sub_u32_e32 v3, 0, v0
	v_ashrrev_i32_e32 v2, 31, v0
	v_max_i32_e32 v0, v0, v3
	v_mul_hi_u32 v1, v0, v1
	v_mul_lo_u32 v3, v1, s3
	v_sub_u32_e32 v0, v0, v3
	v_add_u32_e32 v3, 1, v1
	v_cmp_le_u32_e32 vcc, s3, v0
	v_cndmask_b32_e32 v1, v1, v3, vcc
	v_subrev_u32_e32 v3, s3, v0
	v_cndmask_b32_e32 v0, v0, v3, vcc
	v_add_u32_e32 v3, 1, v1
	v_cmp_le_u32_e32 vcc, s3, v0
	v_xor_b32_e32 v2, s0, v2
	v_cndmask_b32_e32 v0, v1, v3, vcc
	v_xor_b32_e32 v0, v0, v2
	v_sub_u32_e32 v9, v0, v2
	v_cmp_lt_i32_e32 vcc, v8, v9
	s_and_saveexec_b64 s[0:1], vcc
	s_cbranch_execz .LBB7_5
; %bb.1:
	s_load_dwordx4 s[0:3], s[4:5], 0x0
	s_load_dwordx2 s[10:11], s[4:5], 0x10
	s_mov_b64 s[4:5], 0
	s_mov_b32 s6, 0x66666667
	s_mov_b32 s7, 0x2aaaaaab
	;; [unrolled: 1-line block ×4, first 2 shown]
	s_waitcnt lgkmcnt(0)
	v_mov_b32_e32 v10, s3
	s_movk_i32 s3, 0x360
	v_pk_mov_b32 v[0:1], s[10:11], s[10:11] op_sel:[0,1]
	s_movk_i32 s10, 0x90
	v_pk_mov_b32 v[2:3], s[0:1], s[0:1] op_sel:[0,1]
.LBB7_2:                                ; =>This Loop Header: Depth=1
                                        ;     Child Loop BB7_3 Depth 2
	v_mul_hi_i32 v4, v8, s6
	v_lshrrev_b32_e32 v5, 31, v4
	v_ashrrev_i32_e32 v4, 2, v4
	v_add_u32_e32 v5, v4, v5
	v_mul_hi_i32 v6, v5, s7
	v_lshrrev_b32_e32 v7, 31, v6
	v_add_u32_e32 v6, v6, v7
	v_mul_lo_u32 v6, v6, 6
	v_mul_lo_u32 v4, v5, 10
	v_sub_u32_e32 v11, v5, v6
	v_mul_hi_i32 v5, v8, s8
	v_add_u32_e32 v5, v5, v8
	v_lshrrev_b32_e32 v6, 31, v5
	v_ashrrev_i32_e32 v5, 5, v5
	v_add_u32_e32 v5, v5, v6
	v_mul_hi_i32 v6, v5, s7
	v_lshrrev_b32_e32 v7, 31, v6
	v_add_u32_e32 v6, v6, v7
	v_mul_lo_u32 v6, v6, 6
	v_sub_u32_e32 v14, v5, v6
	v_mul_hi_i32 v5, v8, s9
	v_add_u32_e32 v5, v5, v8
	v_lshrrev_b32_e32 v6, 31, v5
	v_ashrrev_i32_e32 v5, 8, v5
	v_add_u32_e32 v5, v5, v6
	v_mul_hi_i32 v6, v5, s7
	v_lshrrev_b32_e32 v7, 31, v6
	v_add_u32_e32 v6, v6, v7
	v_sub_u32_e32 v4, v8, v4
	v_mul_lo_u32 v6, v6, 6
	v_sub_u32_e32 v6, v5, v6
	v_ashrrev_i32_e32 v5, 31, v4
	v_lshlrev_b64 v[12:13], 2, v[4:5]
	v_mad_i64_i32 v[4:5], s[0:1], v4, s3, v[0:1]
	v_ashrrev_i32_e32 v7, 31, v6
	v_mad_i64_i32 v[4:5], s[0:1], v11, s10, v[4:5]
	v_mad_i64_i32 v[4:5], s[0:1], v14, 24, v[4:5]
	v_lshlrev_b64 v[6:7], 2, v[6:7]
	v_add_co_u32_e32 v4, vcc, v4, v6
	v_addc_co_u32_e32 v5, vcc, v5, v7, vcc
	global_load_dword v15, v[4:5], off
	v_mad_i64_i32 v[4:5], s[0:1], v11, s10, v[2:3]
	v_mad_i64_i32 v[4:5], s[0:1], v14, 24, v[4:5]
	v_add_co_u32_e32 v4, vcc, v4, v6
	v_addc_co_u32_e32 v5, vcc, v5, v7, vcc
	global_load_dword v6, v[4:5], off
	v_add_co_u32_e32 v4, vcc, s2, v12
	v_addc_co_u32_e32 v5, vcc, v10, v13, vcc
	global_load_dword v7, v[4:5], off
	s_mov_b64 s[0:1], 0
	s_waitcnt vmcnt(1)
	v_mul_f32_e32 v11, v15, v6
.LBB7_3:                                ;   Parent Loop BB7_2 Depth=1
                                        ; =>  This Inner Loop Header: Depth=2
	s_waitcnt vmcnt(0)
	v_add_f32_e32 v6, v7, v11
	global_atomic_cmpswap v6, v[4:5], v[6:7], off glc
	s_waitcnt vmcnt(0)
	v_cmp_eq_u32_e32 vcc, v6, v7
	s_or_b64 s[0:1], vcc, s[0:1]
	v_mov_b32_e32 v7, v6
	s_andn2_b64 exec, exec, s[0:1]
	s_cbranch_execnz .LBB7_3
; %bb.4:                                ;   in Loop: Header=BB7_2 Depth=1
	s_or_b64 exec, exec, s[0:1]
	v_add_u32_e32 v8, 1, v8
	v_cmp_ge_i32_e32 vcc, v8, v9
	s_or_b64 s[4:5], vcc, s[4:5]
	s_andn2_b64 exec, exec, s[4:5]
	s_cbranch_execnz .LBB7_2
.LBB7_5:
	s_endpgm
	.section	.rodata,"a",@progbits
	.p2align	6, 0x0
	.amdhsa_kernel _Z11fp_preact_fPA6_A6_fPfPA6_S0_
		.amdhsa_group_segment_fixed_size 0
		.amdhsa_private_segment_fixed_size 0
		.amdhsa_kernarg_size 280
		.amdhsa_user_sgpr_count 6
		.amdhsa_user_sgpr_private_segment_buffer 1
		.amdhsa_user_sgpr_dispatch_ptr 0
		.amdhsa_user_sgpr_queue_ptr 0
		.amdhsa_user_sgpr_kernarg_segment_ptr 1
		.amdhsa_user_sgpr_dispatch_id 0
		.amdhsa_user_sgpr_flat_scratch_init 0
		.amdhsa_user_sgpr_kernarg_preload_length 0
		.amdhsa_user_sgpr_kernarg_preload_offset 0
		.amdhsa_user_sgpr_private_segment_size 0
		.amdhsa_uses_dynamic_stack 0
		.amdhsa_system_sgpr_private_segment_wavefront_offset 0
		.amdhsa_system_sgpr_workgroup_id_x 1
		.amdhsa_system_sgpr_workgroup_id_y 0
		.amdhsa_system_sgpr_workgroup_id_z 0
		.amdhsa_system_sgpr_workgroup_info 0
		.amdhsa_system_vgpr_workitem_id 0
		.amdhsa_next_free_vgpr 16
		.amdhsa_next_free_sgpr 12
		.amdhsa_accum_offset 16
		.amdhsa_reserve_vcc 1
		.amdhsa_reserve_flat_scratch 0
		.amdhsa_float_round_mode_32 0
		.amdhsa_float_round_mode_16_64 0
		.amdhsa_float_denorm_mode_32 3
		.amdhsa_float_denorm_mode_16_64 3
		.amdhsa_dx10_clamp 1
		.amdhsa_ieee_mode 1
		.amdhsa_fp16_overflow 0
		.amdhsa_tg_split 0
		.amdhsa_exception_fp_ieee_invalid_op 0
		.amdhsa_exception_fp_denorm_src 0
		.amdhsa_exception_fp_ieee_div_zero 0
		.amdhsa_exception_fp_ieee_overflow 0
		.amdhsa_exception_fp_ieee_underflow 0
		.amdhsa_exception_fp_ieee_inexact 0
		.amdhsa_exception_int_div_zero 0
	.end_amdhsa_kernel
	.text
.Lfunc_end7:
	.size	_Z11fp_preact_fPA6_A6_fPfPA6_S0_, .Lfunc_end7-_Z11fp_preact_fPA6_A6_fPfPA6_S0_
                                        ; -- End function
	.section	.AMDGPU.csdata,"",@progbits
; Kernel info:
; codeLenInByte = 716
; NumSgprs: 16
; NumVgprs: 16
; NumAgprs: 0
; TotalNumVgprs: 16
; ScratchSize: 0
; MemoryBound: 0
; FloatMode: 240
; IeeeMode: 1
; LDSByteSize: 0 bytes/workgroup (compile time only)
; SGPRBlocks: 1
; VGPRBlocks: 1
; NumSGPRsForWavesPerEU: 16
; NumVGPRsForWavesPerEU: 16
; AccumOffset: 16
; Occupancy: 8
; WaveLimiterHint : 0
; COMPUTE_PGM_RSRC2:SCRATCH_EN: 0
; COMPUTE_PGM_RSRC2:USER_SGPR: 6
; COMPUTE_PGM_RSRC2:TRAP_HANDLER: 0
; COMPUTE_PGM_RSRC2:TGID_X_EN: 1
; COMPUTE_PGM_RSRC2:TGID_Y_EN: 0
; COMPUTE_PGM_RSRC2:TGID_Z_EN: 0
; COMPUTE_PGM_RSRC2:TIDIG_COMP_CNT: 0
; COMPUTE_PGM_RSRC3_GFX90A:ACCUM_OFFSET: 3
; COMPUTE_PGM_RSRC3_GFX90A:TG_SPLIT: 0
	.text
	.protected	_Z9fp_bias_fPfS_        ; -- Begin function _Z9fp_bias_fPfS_
	.globl	_Z9fp_bias_fPfS_
	.p2align	8
	.type	_Z9fp_bias_fPfS_,@function
_Z9fp_bias_fPfS_:                       ; @_Z9fp_bias_fPfS_
; %bb.0:
	s_load_dword s0, s[4:5], 0x1c
	s_load_dword s1, s[4:5], 0x10
	s_waitcnt lgkmcnt(0)
	s_and_b32 s0, s0, 0xffff
	s_mul_i32 s1, s1, s0
	s_abs_i32 s2, s1
	v_cvt_f32_u32_e32 v1, s2
	s_mul_i32 s6, s6, s0
	v_add_u32_e32 v0, s6, v0
	s_ashr_i32 s0, s1, 31
	v_rcp_iflag_f32_e32 v1, v1
	s_sub_i32 s1, 0, s2
	v_mul_lo_u32 v2, v0, 10
	v_sub_u32_e32 v3, 0, v2
	v_mul_f32_e32 v1, 0x4f7ffffe, v1
	v_cvt_u32_f32_e32 v1, v1
	v_max_i32_e32 v3, v2, v3
	v_ashrrev_i32_e32 v0, 31, v2
	v_xor_b32_e32 v0, s0, v0
	v_mul_lo_u32 v4, s1, v1
	v_mul_hi_u32 v4, v1, v4
	v_add_u32_e32 v1, v1, v4
	v_mul_hi_u32 v4, v3, v1
	v_mul_lo_u32 v5, v4, s2
	v_sub_u32_e32 v3, v3, v5
	v_add_u32_e32 v6, 1, v4
	v_cmp_le_u32_e32 vcc, s2, v3
	v_subrev_u32_e32 v5, s2, v3
	v_cndmask_b32_e32 v4, v4, v6, vcc
	v_cndmask_b32_e32 v3, v3, v5, vcc
	v_add_u32_e32 v5, 1, v4
	v_cmp_le_u32_e32 vcc, s2, v3
	v_cndmask_b32_e32 v3, v4, v5, vcc
	v_add_u32_e32 v2, 10, v2
	v_xor_b32_e32 v3, v3, v0
	v_sub_u32_e32 v4, 0, v2
	v_sub_u32_e32 v0, v3, v0
	v_ashrrev_i32_e32 v3, 31, v2
	v_max_i32_e32 v2, v2, v4
	v_mul_hi_u32 v1, v2, v1
	v_mul_lo_u32 v4, v1, s2
	v_sub_u32_e32 v2, v2, v4
	v_add_u32_e32 v4, 1, v1
	v_cmp_le_u32_e32 vcc, s2, v2
	v_cndmask_b32_e32 v1, v1, v4, vcc
	v_subrev_u32_e32 v4, s2, v2
	v_cndmask_b32_e32 v2, v2, v4, vcc
	v_add_u32_e32 v4, 1, v1
	v_cmp_le_u32_e32 vcc, s2, v2
	v_xor_b32_e32 v3, s0, v3
	v_cndmask_b32_e32 v1, v1, v4, vcc
	v_xor_b32_e32 v1, v1, v3
	v_sub_u32_e32 v6, v1, v3
	v_cmp_lt_i32_e32 vcc, v0, v6
	s_and_saveexec_b64 s[0:1], vcc
	s_cbranch_execz .LBB8_3
; %bb.1:
	s_load_dwordx4 s[0:3], s[4:5], 0x0
	v_ashrrev_i32_e32 v1, 31, v0
	v_lshlrev_b64 v[4:5], 2, v[0:1]
	s_waitcnt lgkmcnt(0)
	v_mov_b32_e32 v1, s3
	v_add_co_u32_e32 v2, vcc, s2, v4
	v_addc_co_u32_e32 v3, vcc, v1, v5, vcc
	v_mov_b32_e32 v1, s1
	v_add_co_u32_e32 v4, vcc, s0, v4
	v_addc_co_u32_e32 v5, vcc, v1, v5, vcc
	s_mov_b64 s[0:1], 0
.LBB8_2:                                ; =>This Inner Loop Header: Depth=1
	global_load_dword v1, v[2:3], off
	global_load_dword v7, v[4:5], off
	v_add_co_u32_e32 v2, vcc, 4, v2
	v_add_u32_e32 v0, 1, v0
	v_addc_co_u32_e32 v3, vcc, 0, v3, vcc
	v_cmp_ge_i32_e32 vcc, v0, v6
	s_or_b64 s[0:1], vcc, s[0:1]
	s_waitcnt vmcnt(0)
	v_add_f32_e32 v1, v1, v7
	global_store_dword v[4:5], v1, off
	v_add_co_u32_e32 v4, vcc, 4, v4
	v_addc_co_u32_e32 v5, vcc, 0, v5, vcc
	s_andn2_b64 exec, exec, s[0:1]
	s_cbranch_execnz .LBB8_2
.LBB8_3:
	s_endpgm
	.section	.rodata,"a",@progbits
	.p2align	6, 0x0
	.amdhsa_kernel _Z9fp_bias_fPfS_
		.amdhsa_group_segment_fixed_size 0
		.amdhsa_private_segment_fixed_size 0
		.amdhsa_kernarg_size 272
		.amdhsa_user_sgpr_count 6
		.amdhsa_user_sgpr_private_segment_buffer 1
		.amdhsa_user_sgpr_dispatch_ptr 0
		.amdhsa_user_sgpr_queue_ptr 0
		.amdhsa_user_sgpr_kernarg_segment_ptr 1
		.amdhsa_user_sgpr_dispatch_id 0
		.amdhsa_user_sgpr_flat_scratch_init 0
		.amdhsa_user_sgpr_kernarg_preload_length 0
		.amdhsa_user_sgpr_kernarg_preload_offset 0
		.amdhsa_user_sgpr_private_segment_size 0
		.amdhsa_uses_dynamic_stack 0
		.amdhsa_system_sgpr_private_segment_wavefront_offset 0
		.amdhsa_system_sgpr_workgroup_id_x 1
		.amdhsa_system_sgpr_workgroup_id_y 0
		.amdhsa_system_sgpr_workgroup_id_z 0
		.amdhsa_system_sgpr_workgroup_info 0
		.amdhsa_system_vgpr_workitem_id 0
		.amdhsa_next_free_vgpr 8
		.amdhsa_next_free_sgpr 7
		.amdhsa_accum_offset 8
		.amdhsa_reserve_vcc 1
		.amdhsa_reserve_flat_scratch 0
		.amdhsa_float_round_mode_32 0
		.amdhsa_float_round_mode_16_64 0
		.amdhsa_float_denorm_mode_32 3
		.amdhsa_float_denorm_mode_16_64 3
		.amdhsa_dx10_clamp 1
		.amdhsa_ieee_mode 1
		.amdhsa_fp16_overflow 0
		.amdhsa_tg_split 0
		.amdhsa_exception_fp_ieee_invalid_op 0
		.amdhsa_exception_fp_denorm_src 0
		.amdhsa_exception_fp_ieee_div_zero 0
		.amdhsa_exception_fp_ieee_overflow 0
		.amdhsa_exception_fp_ieee_underflow 0
		.amdhsa_exception_fp_ieee_inexact 0
		.amdhsa_exception_int_div_zero 0
	.end_amdhsa_kernel
	.text
.Lfunc_end8:
	.size	_Z9fp_bias_fPfS_, .Lfunc_end8-_Z9fp_bias_fPfS_
                                        ; -- End function
	.section	.AMDGPU.csdata,"",@progbits
; Kernel info:
; codeLenInByte = 392
; NumSgprs: 11
; NumVgprs: 8
; NumAgprs: 0
; TotalNumVgprs: 8
; ScratchSize: 0
; MemoryBound: 0
; FloatMode: 240
; IeeeMode: 1
; LDSByteSize: 0 bytes/workgroup (compile time only)
; SGPRBlocks: 1
; VGPRBlocks: 0
; NumSGPRsForWavesPerEU: 11
; NumVGPRsForWavesPerEU: 8
; AccumOffset: 8
; Occupancy: 8
; WaveLimiterHint : 0
; COMPUTE_PGM_RSRC2:SCRATCH_EN: 0
; COMPUTE_PGM_RSRC2:USER_SGPR: 6
; COMPUTE_PGM_RSRC2:TRAP_HANDLER: 0
; COMPUTE_PGM_RSRC2:TGID_X_EN: 1
; COMPUTE_PGM_RSRC2:TGID_Y_EN: 0
; COMPUTE_PGM_RSRC2:TGID_Z_EN: 0
; COMPUTE_PGM_RSRC2:TIDIG_COMP_CNT: 0
; COMPUTE_PGM_RSRC3_GFX90A:ACCUM_OFFSET: 1
; COMPUTE_PGM_RSRC3_GFX90A:TG_SPLIT: 0
	.text
	.protected	_Z11bp_weight_fPA6_A6_A6_fPfPS0_ ; -- Begin function _Z11bp_weight_fPA6_A6_A6_fPfPS0_
	.globl	_Z11bp_weight_fPA6_A6_A6_fPfPS0_
	.p2align	8
	.type	_Z11bp_weight_fPA6_A6_A6_fPfPS0_,@function
_Z11bp_weight_fPA6_A6_A6_fPfPS0_:       ; @_Z11bp_weight_fPA6_A6_A6_fPfPS0_
; %bb.0:
	s_load_dword s0, s[4:5], 0x24
	s_load_dword s1, s[4:5], 0x18
	s_movk_i32 s2, 0x870
	s_waitcnt lgkmcnt(0)
	s_and_b32 s0, s0, 0xffff
	s_mul_i32 s1, s1, s0
	s_abs_i32 s3, s1
	v_cvt_f32_u32_e32 v1, s3
	s_mul_i32 s6, s6, s0
	v_add_u32_e32 v0, s6, v0
	s_ashr_i32 s0, s1, 31
	v_rcp_iflag_f32_e32 v1, v1
	s_sub_i32 s1, 0, s3
	v_mul_lo_u32 v2, v0, s2
	v_sub_u32_e32 v3, 0, v2
	v_mul_f32_e32 v1, 0x4f7ffffe, v1
	v_cvt_u32_f32_e32 v1, v1
	v_max_i32_e32 v3, v2, v3
	v_ashrrev_i32_e32 v0, 31, v2
	v_xor_b32_e32 v0, s0, v0
	v_mul_lo_u32 v4, s1, v1
	v_mul_hi_u32 v4, v1, v4
	v_add_u32_e32 v1, v1, v4
	v_mul_hi_u32 v4, v3, v1
	v_mul_lo_u32 v5, v4, s3
	v_sub_u32_e32 v3, v3, v5
	v_add_u32_e32 v5, 1, v4
	v_cmp_le_u32_e32 vcc, s3, v3
	v_cndmask_b32_e32 v4, v4, v5, vcc
	v_subrev_u32_e32 v5, s3, v3
	v_cndmask_b32_e32 v3, v3, v5, vcc
	v_add_u32_e32 v5, 1, v4
	v_cmp_le_u32_e32 vcc, s3, v3
	v_cndmask_b32_e32 v3, v4, v5, vcc
	v_add_u32_e32 v2, 0x870, v2
	v_xor_b32_e32 v3, v3, v0
	v_sub_u32_e32 v4, 0, v2
	v_sub_u32_e32 v0, v3, v0
	v_ashrrev_i32_e32 v3, 31, v2
	v_max_i32_e32 v2, v2, v4
	v_mul_hi_u32 v1, v2, v1
	v_mul_lo_u32 v4, v1, s3
	v_sub_u32_e32 v2, v2, v4
	v_add_u32_e32 v4, 1, v1
	v_cmp_le_u32_e32 vcc, s3, v2
	v_cndmask_b32_e32 v1, v1, v4, vcc
	v_subrev_u32_e32 v4, s3, v2
	v_cndmask_b32_e32 v2, v2, v4, vcc
	v_add_u32_e32 v4, 1, v1
	v_cmp_le_u32_e32 vcc, s3, v2
	v_xor_b32_e32 v3, s0, v3
	v_cndmask_b32_e32 v1, v1, v4, vcc
	v_xor_b32_e32 v1, v1, v3
	v_sub_u32_e32 v1, v1, v3
	v_cmp_lt_i32_e32 vcc, v0, v1
	s_and_saveexec_b64 s[0:1], vcc
	s_cbranch_execz .LBB9_3
; %bb.1:
	s_load_dwordx4 s[0:3], s[4:5], 0x0
	s_load_dwordx2 s[10:11], s[4:5], 0x10
	s_mov_b64 s[4:5], 0
	s_mov_b32 s6, 0x66666667
	s_mov_b32 s7, 0x2aaaaaab
	;; [unrolled: 1-line block ×4, first 2 shown]
	s_waitcnt lgkmcnt(0)
	v_mov_b32_e32 v6, s3
	s_movk_i32 s3, 0x90
	v_pk_mov_b32 v[2:3], s[10:11], s[10:11] op_sel:[0,1]
	s_movk_i32 s10, 0x360
	v_pk_mov_b32 v[4:5], s[0:1], s[0:1] op_sel:[0,1]
.LBB9_2:                                ; =>This Inner Loop Header: Depth=1
	v_mul_hi_i32 v7, v0, s6
	v_mul_hi_i32 v8, v0, s8
	;; [unrolled: 1-line block ×3, first 2 shown]
	v_lshrrev_b32_e32 v10, 31, v7
	v_ashrrev_i32_e32 v7, 2, v7
	v_add_u32_e32 v8, v8, v0
	v_add_u32_e32 v9, v9, v0
	;; [unrolled: 1-line block ×3, first 2 shown]
	v_lshrrev_b32_e32 v10, 31, v8
	v_ashrrev_i32_e32 v11, 5, v8
	v_lshrrev_b32_e32 v12, 31, v9
	v_ashrrev_i32_e32 v13, 8, v9
	v_mad_u64_u32 v[8:9], s[0:1], v7, -10, v[0:1]
	v_mul_hi_i32 v14, v7, s7
	v_add_u32_e32 v15, v11, v10
	v_add_u32_e32 v12, v13, v12
	v_lshrrev_b32_e32 v10, 31, v14
	v_mul_hi_i32 v13, v15, s7
	v_mul_hi_i32 v16, v12, s7
	v_ashrrev_i32_e32 v9, 31, v8
	v_add_u32_e32 v14, v14, v10
	v_lshrrev_b32_e32 v17, 31, v13
	v_lshrrev_b32_e32 v18, 31, v16
	v_lshlrev_b64 v[10:11], 2, v[8:9]
	v_mul_lo_u32 v9, v14, 6
	v_add_u32_e32 v13, v13, v17
	v_add_u32_e32 v14, v16, v18
	v_add_co_u32_e32 v10, vcc, s2, v10
	v_addc_co_u32_e32 v11, vcc, v6, v11, vcc
	v_sub_u32_e32 v7, v7, v9
	v_mul_lo_u32 v9, v13, 6
	v_mul_lo_u32 v13, v14, 6
	global_load_dword v14, v[10:11], off
	v_sub_u32_e32 v10, v12, v13
	v_sub_u32_e32 v15, v15, v9
	v_mad_i64_i32 v[12:13], s[0:1], v7, s3, v[2:3]
	v_ashrrev_i32_e32 v11, 31, v10
	v_mad_i64_i32 v[12:13], s[0:1], v15, 24, v[12:13]
	v_lshlrev_b64 v[10:11], 2, v[10:11]
	v_add_co_u32_e32 v12, vcc, v12, v10
	v_addc_co_u32_e32 v13, vcc, v13, v11, vcc
	global_load_dword v12, v[12:13], off
	v_mad_i64_i32 v[8:9], s[0:1], v8, s10, v[4:5]
	v_add_u32_e32 v0, 1, v0
	v_mad_i64_i32 v[8:9], s[0:1], v7, s3, v[8:9]
	v_cmp_ge_i32_e32 vcc, v0, v1
	v_mad_i64_i32 v[8:9], s[0:1], v15, 24, v[8:9]
	s_or_b64 s[4:5], vcc, s[4:5]
	v_add_co_u32_e32 v8, vcc, v8, v10
	v_addc_co_u32_e32 v9, vcc, v9, v11, vcc
	s_waitcnt vmcnt(0)
	v_mul_f32_e32 v7, v14, v12
	global_store_dword v[8:9], v7, off
	s_andn2_b64 exec, exec, s[4:5]
	s_cbranch_execnz .LBB9_2
.LBB9_3:
	s_endpgm
	.section	.rodata,"a",@progbits
	.p2align	6, 0x0
	.amdhsa_kernel _Z11bp_weight_fPA6_A6_A6_fPfPS0_
		.amdhsa_group_segment_fixed_size 0
		.amdhsa_private_segment_fixed_size 0
		.amdhsa_kernarg_size 280
		.amdhsa_user_sgpr_count 6
		.amdhsa_user_sgpr_private_segment_buffer 1
		.amdhsa_user_sgpr_dispatch_ptr 0
		.amdhsa_user_sgpr_queue_ptr 0
		.amdhsa_user_sgpr_kernarg_segment_ptr 1
		.amdhsa_user_sgpr_dispatch_id 0
		.amdhsa_user_sgpr_flat_scratch_init 0
		.amdhsa_user_sgpr_kernarg_preload_length 0
		.amdhsa_user_sgpr_kernarg_preload_offset 0
		.amdhsa_user_sgpr_private_segment_size 0
		.amdhsa_uses_dynamic_stack 0
		.amdhsa_system_sgpr_private_segment_wavefront_offset 0
		.amdhsa_system_sgpr_workgroup_id_x 1
		.amdhsa_system_sgpr_workgroup_id_y 0
		.amdhsa_system_sgpr_workgroup_id_z 0
		.amdhsa_system_sgpr_workgroup_info 0
		.amdhsa_system_vgpr_workitem_id 0
		.amdhsa_next_free_vgpr 19
		.amdhsa_next_free_sgpr 12
		.amdhsa_accum_offset 20
		.amdhsa_reserve_vcc 1
		.amdhsa_reserve_flat_scratch 0
		.amdhsa_float_round_mode_32 0
		.amdhsa_float_round_mode_16_64 0
		.amdhsa_float_denorm_mode_32 3
		.amdhsa_float_denorm_mode_16_64 3
		.amdhsa_dx10_clamp 1
		.amdhsa_ieee_mode 1
		.amdhsa_fp16_overflow 0
		.amdhsa_tg_split 0
		.amdhsa_exception_fp_ieee_invalid_op 0
		.amdhsa_exception_fp_denorm_src 0
		.amdhsa_exception_fp_ieee_div_zero 0
		.amdhsa_exception_fp_ieee_overflow 0
		.amdhsa_exception_fp_ieee_underflow 0
		.amdhsa_exception_fp_ieee_inexact 0
		.amdhsa_exception_int_div_zero 0
	.end_amdhsa_kernel
	.text
.Lfunc_end9:
	.size	_Z11bp_weight_fPA6_A6_A6_fPfPS0_, .Lfunc_end9-_Z11bp_weight_fPA6_A6_A6_fPfPS0_
                                        ; -- End function
	.section	.AMDGPU.csdata,"",@progbits
; Kernel info:
; codeLenInByte = 664
; NumSgprs: 16
; NumVgprs: 19
; NumAgprs: 0
; TotalNumVgprs: 19
; ScratchSize: 0
; MemoryBound: 0
; FloatMode: 240
; IeeeMode: 1
; LDSByteSize: 0 bytes/workgroup (compile time only)
; SGPRBlocks: 1
; VGPRBlocks: 2
; NumSGPRsForWavesPerEU: 16
; NumVGPRsForWavesPerEU: 19
; AccumOffset: 20
; Occupancy: 8
; WaveLimiterHint : 0
; COMPUTE_PGM_RSRC2:SCRATCH_EN: 0
; COMPUTE_PGM_RSRC2:USER_SGPR: 6
; COMPUTE_PGM_RSRC2:TRAP_HANDLER: 0
; COMPUTE_PGM_RSRC2:TGID_X_EN: 1
; COMPUTE_PGM_RSRC2:TGID_Y_EN: 0
; COMPUTE_PGM_RSRC2:TGID_Z_EN: 0
; COMPUTE_PGM_RSRC2:TIDIG_COMP_CNT: 0
; COMPUTE_PGM_RSRC3_GFX90A:ACCUM_OFFSET: 4
; COMPUTE_PGM_RSRC3_GFX90A:TG_SPLIT: 0
	.text
	.protected	_Z9bp_bias_fPfS_        ; -- Begin function _Z9bp_bias_fPfS_
	.globl	_Z9bp_bias_fPfS_
	.p2align	8
	.type	_Z9bp_bias_fPfS_,@function
_Z9bp_bias_fPfS_:                       ; @_Z9bp_bias_fPfS_
; %bb.0:
	s_load_dword s0, s[4:5], 0x1c
	s_load_dword s1, s[4:5], 0x10
	s_waitcnt lgkmcnt(0)
	s_and_b32 s0, s0, 0xffff
	s_mul_i32 s1, s1, s0
	s_abs_i32 s2, s1
	v_cvt_f32_u32_e32 v1, s2
	s_mul_i32 s6, s6, s0
	v_add_u32_e32 v0, s6, v0
	s_ashr_i32 s0, s1, 31
	v_rcp_iflag_f32_e32 v1, v1
	s_sub_i32 s1, 0, s2
	v_mul_lo_u32 v2, v0, 10
	v_sub_u32_e32 v3, 0, v2
	v_mul_f32_e32 v1, 0x4f7ffffe, v1
	v_cvt_u32_f32_e32 v1, v1
	v_max_i32_e32 v3, v2, v3
	v_ashrrev_i32_e32 v0, 31, v2
	v_xor_b32_e32 v0, s0, v0
	v_mul_lo_u32 v4, s1, v1
	v_mul_hi_u32 v4, v1, v4
	v_add_u32_e32 v1, v1, v4
	v_mul_hi_u32 v4, v3, v1
	v_mul_lo_u32 v5, v4, s2
	v_sub_u32_e32 v3, v3, v5
	v_add_u32_e32 v6, 1, v4
	v_cmp_le_u32_e32 vcc, s2, v3
	v_subrev_u32_e32 v5, s2, v3
	v_cndmask_b32_e32 v4, v4, v6, vcc
	v_cndmask_b32_e32 v3, v3, v5, vcc
	v_add_u32_e32 v5, 1, v4
	v_cmp_le_u32_e32 vcc, s2, v3
	v_cndmask_b32_e32 v3, v4, v5, vcc
	v_add_u32_e32 v2, 10, v2
	v_xor_b32_e32 v3, v3, v0
	v_sub_u32_e32 v4, 0, v2
	v_sub_u32_e32 v0, v3, v0
	v_ashrrev_i32_e32 v3, 31, v2
	v_max_i32_e32 v2, v2, v4
	v_mul_hi_u32 v1, v2, v1
	v_mul_lo_u32 v4, v1, s2
	v_sub_u32_e32 v2, v2, v4
	v_add_u32_e32 v4, 1, v1
	v_cmp_le_u32_e32 vcc, s2, v2
	v_cndmask_b32_e32 v1, v1, v4, vcc
	v_subrev_u32_e32 v4, s2, v2
	v_cndmask_b32_e32 v2, v2, v4, vcc
	v_add_u32_e32 v4, 1, v1
	v_cmp_le_u32_e32 vcc, s2, v2
	v_xor_b32_e32 v3, s0, v3
	v_cndmask_b32_e32 v1, v1, v4, vcc
	v_xor_b32_e32 v1, v1, v3
	v_sub_u32_e32 v6, v1, v3
	v_cmp_lt_i32_e32 vcc, v0, v6
	s_and_saveexec_b64 s[0:1], vcc
	s_cbranch_execz .LBB10_3
; %bb.1:
	s_load_dwordx4 s[0:3], s[4:5], 0x0
	v_ashrrev_i32_e32 v1, 31, v0
	v_lshlrev_b64 v[4:5], 2, v[0:1]
	s_waitcnt lgkmcnt(0)
	v_mov_b32_e32 v1, s3
	v_add_co_u32_e32 v2, vcc, s2, v4
	v_addc_co_u32_e32 v3, vcc, v1, v5, vcc
	v_mov_b32_e32 v1, s1
	v_add_co_u32_e32 v4, vcc, s0, v4
	v_addc_co_u32_e32 v5, vcc, v1, v5, vcc
	s_mov_b64 s[0:1], 0
.LBB10_2:                               ; =>This Inner Loop Header: Depth=1
	global_load_dword v1, v[2:3], off
	global_load_dword v7, v[4:5], off
	v_add_co_u32_e32 v2, vcc, 4, v2
	v_add_u32_e32 v0, 1, v0
	v_addc_co_u32_e32 v3, vcc, 0, v3, vcc
	v_cmp_ge_i32_e32 vcc, v0, v6
	s_or_b64 s[0:1], vcc, s[0:1]
	s_waitcnt vmcnt(0)
	v_fmac_f32_e32 v7, 0x3dcccccd, v1
	global_store_dword v[4:5], v7, off
	v_add_co_u32_e32 v4, vcc, 4, v4
	v_addc_co_u32_e32 v5, vcc, 0, v5, vcc
	s_andn2_b64 exec, exec, s[0:1]
	s_cbranch_execnz .LBB10_2
.LBB10_3:
	s_endpgm
	.section	.rodata,"a",@progbits
	.p2align	6, 0x0
	.amdhsa_kernel _Z9bp_bias_fPfS_
		.amdhsa_group_segment_fixed_size 0
		.amdhsa_private_segment_fixed_size 0
		.amdhsa_kernarg_size 272
		.amdhsa_user_sgpr_count 6
		.amdhsa_user_sgpr_private_segment_buffer 1
		.amdhsa_user_sgpr_dispatch_ptr 0
		.amdhsa_user_sgpr_queue_ptr 0
		.amdhsa_user_sgpr_kernarg_segment_ptr 1
		.amdhsa_user_sgpr_dispatch_id 0
		.amdhsa_user_sgpr_flat_scratch_init 0
		.amdhsa_user_sgpr_kernarg_preload_length 0
		.amdhsa_user_sgpr_kernarg_preload_offset 0
		.amdhsa_user_sgpr_private_segment_size 0
		.amdhsa_uses_dynamic_stack 0
		.amdhsa_system_sgpr_private_segment_wavefront_offset 0
		.amdhsa_system_sgpr_workgroup_id_x 1
		.amdhsa_system_sgpr_workgroup_id_y 0
		.amdhsa_system_sgpr_workgroup_id_z 0
		.amdhsa_system_sgpr_workgroup_info 0
		.amdhsa_system_vgpr_workitem_id 0
		.amdhsa_next_free_vgpr 8
		.amdhsa_next_free_sgpr 7
		.amdhsa_accum_offset 8
		.amdhsa_reserve_vcc 1
		.amdhsa_reserve_flat_scratch 0
		.amdhsa_float_round_mode_32 0
		.amdhsa_float_round_mode_16_64 0
		.amdhsa_float_denorm_mode_32 3
		.amdhsa_float_denorm_mode_16_64 3
		.amdhsa_dx10_clamp 1
		.amdhsa_ieee_mode 1
		.amdhsa_fp16_overflow 0
		.amdhsa_tg_split 0
		.amdhsa_exception_fp_ieee_invalid_op 0
		.amdhsa_exception_fp_denorm_src 0
		.amdhsa_exception_fp_ieee_div_zero 0
		.amdhsa_exception_fp_ieee_overflow 0
		.amdhsa_exception_fp_ieee_underflow 0
		.amdhsa_exception_fp_ieee_inexact 0
		.amdhsa_exception_int_div_zero 0
	.end_amdhsa_kernel
	.text
.Lfunc_end10:
	.size	_Z9bp_bias_fPfS_, .Lfunc_end10-_Z9bp_bias_fPfS_
                                        ; -- End function
	.section	.AMDGPU.csdata,"",@progbits
; Kernel info:
; codeLenInByte = 396
; NumSgprs: 11
; NumVgprs: 8
; NumAgprs: 0
; TotalNumVgprs: 8
; ScratchSize: 0
; MemoryBound: 0
; FloatMode: 240
; IeeeMode: 1
; LDSByteSize: 0 bytes/workgroup (compile time only)
; SGPRBlocks: 1
; VGPRBlocks: 0
; NumSGPRsForWavesPerEU: 11
; NumVGPRsForWavesPerEU: 8
; AccumOffset: 8
; Occupancy: 8
; WaveLimiterHint : 0
; COMPUTE_PGM_RSRC2:SCRATCH_EN: 0
; COMPUTE_PGM_RSRC2:USER_SGPR: 6
; COMPUTE_PGM_RSRC2:TRAP_HANDLER: 0
; COMPUTE_PGM_RSRC2:TGID_X_EN: 1
; COMPUTE_PGM_RSRC2:TGID_Y_EN: 0
; COMPUTE_PGM_RSRC2:TGID_Z_EN: 0
; COMPUTE_PGM_RSRC2:TIDIG_COMP_CNT: 0
; COMPUTE_PGM_RSRC3_GFX90A:ACCUM_OFFSET: 1
; COMPUTE_PGM_RSRC3_GFX90A:TG_SPLIT: 0
	.text
	.protected	_Z12bp_output_s1PA6_A6_fPA6_S0_Pf ; -- Begin function _Z12bp_output_s1PA6_A6_fPA6_S0_Pf
	.globl	_Z12bp_output_s1PA6_A6_fPA6_S0_Pf
	.p2align	8
	.type	_Z12bp_output_s1PA6_A6_fPA6_S0_Pf,@function
_Z12bp_output_s1PA6_A6_fPA6_S0_Pf:      ; @_Z12bp_output_s1PA6_A6_fPA6_S0_Pf
; %bb.0:
	s_load_dword s0, s[4:5], 0x24
	s_load_dword s1, s[4:5], 0x18
	s_movk_i32 s2, 0x870
	s_waitcnt lgkmcnt(0)
	s_and_b32 s0, s0, 0xffff
	s_mul_i32 s1, s1, s0
	s_abs_i32 s3, s1
	v_cvt_f32_u32_e32 v1, s3
	s_mul_i32 s6, s6, s0
	v_add_u32_e32 v0, s6, v0
	s_ashr_i32 s0, s1, 31
	v_rcp_iflag_f32_e32 v1, v1
	s_sub_i32 s1, 0, s3
	v_mul_lo_u32 v0, v0, s2
	v_sub_u32_e32 v3, 0, v0
	v_mul_f32_e32 v1, 0x4f7ffffe, v1
	v_cvt_u32_f32_e32 v1, v1
	v_max_i32_e32 v3, v0, v3
	v_ashrrev_i32_e32 v2, 31, v0
	v_xor_b32_e32 v2, s0, v2
	v_mul_lo_u32 v4, s1, v1
	v_mul_hi_u32 v4, v1, v4
	v_add_u32_e32 v1, v1, v4
	v_mul_hi_u32 v4, v3, v1
	v_mul_lo_u32 v5, v4, s3
	v_sub_u32_e32 v3, v3, v5
	v_add_u32_e32 v5, 1, v4
	v_cmp_le_u32_e32 vcc, s3, v3
	v_cndmask_b32_e32 v4, v4, v5, vcc
	v_subrev_u32_e32 v5, s3, v3
	v_cndmask_b32_e32 v3, v3, v5, vcc
	v_add_u32_e32 v5, 1, v4
	v_cmp_le_u32_e32 vcc, s3, v3
	v_cndmask_b32_e32 v3, v4, v5, vcc
	v_xor_b32_e32 v3, v3, v2
	v_add_u32_e32 v0, 0x870, v0
	v_sub_u32_e32 v8, v3, v2
	v_sub_u32_e32 v3, 0, v0
	v_ashrrev_i32_e32 v2, 31, v0
	v_max_i32_e32 v0, v0, v3
	v_mul_hi_u32 v1, v0, v1
	v_mul_lo_u32 v3, v1, s3
	v_sub_u32_e32 v0, v0, v3
	v_add_u32_e32 v3, 1, v1
	v_cmp_le_u32_e32 vcc, s3, v0
	v_cndmask_b32_e32 v1, v1, v3, vcc
	v_subrev_u32_e32 v3, s3, v0
	v_cndmask_b32_e32 v0, v0, v3, vcc
	v_add_u32_e32 v3, 1, v1
	v_cmp_le_u32_e32 vcc, s3, v0
	v_xor_b32_e32 v2, s0, v2
	v_cndmask_b32_e32 v0, v1, v3, vcc
	v_xor_b32_e32 v0, v0, v2
	v_sub_u32_e32 v9, v0, v2
	v_cmp_lt_i32_e32 vcc, v8, v9
	s_and_saveexec_b64 s[0:1], vcc
	s_cbranch_execz .LBB11_5
; %bb.1:
	s_load_dwordx4 s[12:15], s[4:5], 0x0
	s_load_dwordx2 s[0:1], s[4:5], 0x10
	s_mov_b64 s[2:3], 0
	s_mov_b32 s6, 0x66666667
	s_mov_b32 s7, 0x2aaaaaab
	;; [unrolled: 1-line block ×4, first 2 shown]
	s_movk_i32 s10, 0x90
	s_waitcnt lgkmcnt(0)
	v_pk_mov_b32 v[0:1], s[12:13], s[12:13] op_sel:[0,1]
	s_movk_i32 s11, 0x360
	v_pk_mov_b32 v[2:3], s[14:15], s[14:15] op_sel:[0,1]
	v_mov_b32_e32 v10, s1
.LBB11_2:                               ; =>This Loop Header: Depth=1
                                        ;     Child Loop BB11_3 Depth 2
	v_mul_hi_i32 v4, v8, s6
	v_lshrrev_b32_e32 v5, 31, v4
	v_ashrrev_i32_e32 v4, 2, v4
	v_add_u32_e32 v5, v4, v5
	v_mul_hi_i32 v6, v5, s7
	v_lshrrev_b32_e32 v7, 31, v6
	v_add_u32_e32 v6, v6, v7
	v_mul_lo_u32 v6, v6, 6
	v_mul_lo_u32 v4, v5, 10
	v_sub_u32_e32 v11, v5, v6
	v_mul_hi_i32 v5, v8, s8
	v_add_u32_e32 v5, v5, v8
	v_lshrrev_b32_e32 v6, 31, v5
	v_ashrrev_i32_e32 v5, 5, v5
	v_add_u32_e32 v5, v5, v6
	v_mul_hi_i32 v6, v5, s7
	v_lshrrev_b32_e32 v7, 31, v6
	v_add_u32_e32 v6, v6, v7
	v_mul_lo_u32 v6, v6, 6
	v_sub_u32_e32 v16, v5, v6
	v_mul_hi_i32 v5, v8, s9
	v_add_u32_e32 v5, v5, v8
	v_lshrrev_b32_e32 v6, 31, v5
	v_ashrrev_i32_e32 v5, 8, v5
	v_add_u32_e32 v5, v5, v6
	v_mul_hi_i32 v6, v5, s7
	v_lshrrev_b32_e32 v7, 31, v6
	v_add_u32_e32 v6, v6, v7
	v_sub_u32_e32 v4, v8, v4
	v_mul_lo_u32 v6, v6, 6
	v_sub_u32_e32 v6, v5, v6
	v_mad_i64_i32 v[14:15], s[4:5], v4, s11, v[2:3]
	v_ashrrev_i32_e32 v7, 31, v6
	v_mad_i64_i32 v[14:15], s[4:5], v11, s10, v[14:15]
	v_lshlrev_b64 v[6:7], 2, v[6:7]
	v_mad_i64_i32 v[14:15], s[4:5], v16, 24, v[14:15]
	v_ashrrev_i32_e32 v5, 31, v4
	v_add_co_u32_e32 v14, vcc, v14, v6
	v_addc_co_u32_e32 v15, vcc, v15, v7, vcc
	v_lshlrev_b64 v[4:5], 2, v[4:5]
	v_mad_i64_i32 v[12:13], s[4:5], v11, s10, v[0:1]
	v_add_co_u32_e32 v4, vcc, s0, v4
	v_mad_i64_i32 v[12:13], s[4:5], v16, 24, v[12:13]
	v_addc_co_u32_e32 v5, vcc, v10, v5, vcc
	global_load_dword v11, v[14:15], off
	s_mov_b64 s[4:5], 0
	global_load_dword v14, v[4:5], off
	v_add_co_u32_e32 v4, vcc, v12, v6
	v_addc_co_u32_e32 v5, vcc, v13, v7, vcc
	global_load_dword v7, v[4:5], off
	s_waitcnt vmcnt(1)
	v_mul_f32_e32 v11, v11, v14
.LBB11_3:                               ;   Parent Loop BB11_2 Depth=1
                                        ; =>  This Inner Loop Header: Depth=2
	s_waitcnt vmcnt(0)
	v_add_f32_e32 v6, v7, v11
	global_atomic_cmpswap v6, v[4:5], v[6:7], off glc
	s_waitcnt vmcnt(0)
	v_cmp_eq_u32_e32 vcc, v6, v7
	s_or_b64 s[4:5], vcc, s[4:5]
	v_mov_b32_e32 v7, v6
	s_andn2_b64 exec, exec, s[4:5]
	s_cbranch_execnz .LBB11_3
; %bb.4:                                ;   in Loop: Header=BB11_2 Depth=1
	s_or_b64 exec, exec, s[4:5]
	v_add_u32_e32 v8, 1, v8
	v_cmp_ge_i32_e32 vcc, v8, v9
	s_or_b64 s[2:3], vcc, s[2:3]
	s_andn2_b64 exec, exec, s[2:3]
	s_cbranch_execnz .LBB11_2
.LBB11_5:
	s_endpgm
	.section	.rodata,"a",@progbits
	.p2align	6, 0x0
	.amdhsa_kernel _Z12bp_output_s1PA6_A6_fPA6_S0_Pf
		.amdhsa_group_segment_fixed_size 0
		.amdhsa_private_segment_fixed_size 0
		.amdhsa_kernarg_size 280
		.amdhsa_user_sgpr_count 6
		.amdhsa_user_sgpr_private_segment_buffer 1
		.amdhsa_user_sgpr_dispatch_ptr 0
		.amdhsa_user_sgpr_queue_ptr 0
		.amdhsa_user_sgpr_kernarg_segment_ptr 1
		.amdhsa_user_sgpr_dispatch_id 0
		.amdhsa_user_sgpr_flat_scratch_init 0
		.amdhsa_user_sgpr_kernarg_preload_length 0
		.amdhsa_user_sgpr_kernarg_preload_offset 0
		.amdhsa_user_sgpr_private_segment_size 0
		.amdhsa_uses_dynamic_stack 0
		.amdhsa_system_sgpr_private_segment_wavefront_offset 0
		.amdhsa_system_sgpr_workgroup_id_x 1
		.amdhsa_system_sgpr_workgroup_id_y 0
		.amdhsa_system_sgpr_workgroup_id_z 0
		.amdhsa_system_sgpr_workgroup_info 0
		.amdhsa_system_vgpr_workitem_id 0
		.amdhsa_next_free_vgpr 17
		.amdhsa_next_free_sgpr 16
		.amdhsa_accum_offset 20
		.amdhsa_reserve_vcc 1
		.amdhsa_reserve_flat_scratch 0
		.amdhsa_float_round_mode_32 0
		.amdhsa_float_round_mode_16_64 0
		.amdhsa_float_denorm_mode_32 3
		.amdhsa_float_denorm_mode_16_64 3
		.amdhsa_dx10_clamp 1
		.amdhsa_ieee_mode 1
		.amdhsa_fp16_overflow 0
		.amdhsa_tg_split 0
		.amdhsa_exception_fp_ieee_invalid_op 0
		.amdhsa_exception_fp_denorm_src 0
		.amdhsa_exception_fp_ieee_div_zero 0
		.amdhsa_exception_fp_ieee_overflow 0
		.amdhsa_exception_fp_ieee_underflow 0
		.amdhsa_exception_fp_ieee_inexact 0
		.amdhsa_exception_int_div_zero 0
	.end_amdhsa_kernel
	.text
.Lfunc_end11:
	.size	_Z12bp_output_s1PA6_A6_fPA6_S0_Pf, .Lfunc_end11-_Z12bp_output_s1PA6_A6_fPA6_S0_Pf
                                        ; -- End function
	.section	.AMDGPU.csdata,"",@progbits
; Kernel info:
; codeLenInByte = 716
; NumSgprs: 20
; NumVgprs: 17
; NumAgprs: 0
; TotalNumVgprs: 17
; ScratchSize: 0
; MemoryBound: 0
; FloatMode: 240
; IeeeMode: 1
; LDSByteSize: 0 bytes/workgroup (compile time only)
; SGPRBlocks: 2
; VGPRBlocks: 2
; NumSGPRsForWavesPerEU: 20
; NumVGPRsForWavesPerEU: 17
; AccumOffset: 20
; Occupancy: 8
; WaveLimiterHint : 0
; COMPUTE_PGM_RSRC2:SCRATCH_EN: 0
; COMPUTE_PGM_RSRC2:USER_SGPR: 6
; COMPUTE_PGM_RSRC2:TRAP_HANDLER: 0
; COMPUTE_PGM_RSRC2:TGID_X_EN: 1
; COMPUTE_PGM_RSRC2:TGID_Y_EN: 0
; COMPUTE_PGM_RSRC2:TGID_Z_EN: 0
; COMPUTE_PGM_RSRC2:TIDIG_COMP_CNT: 0
; COMPUTE_PGM_RSRC3_GFX90A:ACCUM_OFFSET: 4
; COMPUTE_PGM_RSRC3_GFX90A:TG_SPLIT: 0
	.text
	.protected	_Z12bp_preact_s1PA6_A6_fS1_S1_ ; -- Begin function _Z12bp_preact_s1PA6_A6_fS1_S1_
	.globl	_Z12bp_preact_s1PA6_A6_fS1_S1_
	.p2align	8
	.type	_Z12bp_preact_s1PA6_A6_fS1_S1_,@function
_Z12bp_preact_s1PA6_A6_fS1_S1_:         ; @_Z12bp_preact_s1PA6_A6_fS1_S1_
; %bb.0:
	s_load_dword s0, s[4:5], 0x24
	s_load_dword s1, s[4:5], 0x18
	s_movk_i32 s2, 0xd8
	s_waitcnt lgkmcnt(0)
	s_and_b32 s0, s0, 0xffff
	s_mul_i32 s1, s1, s0
	s_abs_i32 s3, s1
	v_cvt_f32_u32_e32 v1, s3
	s_mul_i32 s6, s6, s0
	v_add_u32_e32 v0, s6, v0
	s_ashr_i32 s0, s1, 31
	v_rcp_iflag_f32_e32 v1, v1
	s_sub_i32 s1, 0, s3
	v_mul_lo_u32 v2, v0, s2
	v_sub_u32_e32 v3, 0, v2
	v_mul_f32_e32 v1, 0x4f7ffffe, v1
	v_cvt_u32_f32_e32 v1, v1
	v_max_i32_e32 v3, v2, v3
	v_ashrrev_i32_e32 v0, 31, v2
	v_xor_b32_e32 v0, s0, v0
	v_mul_lo_u32 v4, s1, v1
	v_mul_hi_u32 v4, v1, v4
	v_add_u32_e32 v1, v1, v4
	v_mul_hi_u32 v4, v3, v1
	v_mul_lo_u32 v5, v4, s3
	v_sub_u32_e32 v3, v3, v5
	v_add_u32_e32 v5, 1, v4
	v_cmp_le_u32_e32 vcc, s3, v3
	v_cndmask_b32_e32 v4, v4, v5, vcc
	v_subrev_u32_e32 v5, s3, v3
	v_cndmask_b32_e32 v3, v3, v5, vcc
	v_add_u32_e32 v5, 1, v4
	v_cmp_le_u32_e32 vcc, s3, v3
	v_cndmask_b32_e32 v3, v4, v5, vcc
	v_add_u32_e32 v2, 0xd8, v2
	v_xor_b32_e32 v3, v3, v0
	v_sub_u32_e32 v4, 0, v2
	v_sub_u32_e32 v0, v3, v0
	v_ashrrev_i32_e32 v3, 31, v2
	v_max_i32_e32 v2, v2, v4
	v_mul_hi_u32 v1, v2, v1
	v_mul_lo_u32 v4, v1, s3
	v_sub_u32_e32 v2, v2, v4
	v_add_u32_e32 v4, 1, v1
	v_cmp_le_u32_e32 vcc, s3, v2
	v_cndmask_b32_e32 v1, v1, v4, vcc
	v_subrev_u32_e32 v4, s3, v2
	v_cndmask_b32_e32 v2, v2, v4, vcc
	v_add_u32_e32 v4, 1, v1
	v_cmp_le_u32_e32 vcc, s3, v2
	v_xor_b32_e32 v3, s0, v3
	v_cndmask_b32_e32 v1, v1, v4, vcc
	v_xor_b32_e32 v1, v1, v3
	v_sub_u32_e32 v1, v1, v3
	v_cmp_lt_i32_e32 vcc, v0, v1
	s_and_saveexec_b64 s[0:1], vcc
	s_cbranch_execz .LBB12_3
; %bb.1:
	s_load_dwordx4 s[8:11], s[4:5], 0x0
	s_load_dwordx2 s[6:7], s[4:5], 0x10
	s_mov_b64 s[0:1], 0
	s_mov_b32 s2, 0x2aaaaaab
	s_mov_b32 s3, 0x38e38e39
	s_movk_i32 s4, 0x90
	s_waitcnt lgkmcnt(0)
	v_pk_mov_b32 v[2:3], s[6:7], s[6:7] op_sel:[0,1]
	s_mov_b32 s5, 0xbfb8aa3b
	s_mov_b32 s6, 0x42ce8ed0
	;; [unrolled: 1-line block ×3, first 2 shown]
	v_mov_b32_e32 v8, 0x7f800000
	v_pk_mov_b32 v[4:5], s[10:11], s[10:11] op_sel:[0,1]
	v_pk_mov_b32 v[6:7], s[8:9], s[8:9] op_sel:[0,1]
.LBB12_2:                               ; =>This Inner Loop Header: Depth=1
	v_mul_hi_i32 v9, v0, s2
	v_mul_hi_i32 v10, v0, s3
	v_lshrrev_b32_e32 v11, 31, v9
	v_lshrrev_b32_e32 v12, 31, v10
	v_ashrrev_i32_e32 v10, 3, v10
	v_add_u32_e32 v9, v9, v11
	v_add_u32_e32 v14, v10, v12
	v_mad_u64_u32 v[10:11], s[8:9], v9, -6, v[0:1]
	v_mul_hi_i32 v15, v14, s2
	v_mul_hi_i32 v11, v9, s2
	v_lshrrev_b32_e32 v17, 31, v15
	v_lshrrev_b32_e32 v16, 31, v11
	v_add_u32_e32 v15, v15, v17
	v_add_u32_e32 v11, v11, v16
	v_mul_lo_u32 v15, v15, 6
	v_mul_lo_u32 v11, v11, 6
	v_sub_u32_e32 v14, v14, v15
	v_mad_i64_i32 v[12:13], s[8:9], v10, s4, v[2:3]
	v_sub_u32_e32 v9, v9, v11
	v_ashrrev_i32_e32 v15, 31, v14
	v_mad_i64_i32 v[12:13], s[8:9], v9, 24, v[12:13]
	v_lshlrev_b64 v[14:15], 2, v[14:15]
	v_add_co_u32_e32 v12, vcc, v12, v14
	v_addc_co_u32_e32 v13, vcc, v13, v15, vcc
	global_load_dword v16, v[12:13], off
	v_mad_i64_i32 v[12:13], s[8:9], v10, s4, v[4:5]
	v_mad_i64_i32 v[12:13], s[8:9], v9, 24, v[12:13]
	v_add_co_u32_e32 v12, vcc, v12, v14
	v_addc_co_u32_e32 v13, vcc, v13, v15, vcc
	global_load_dword v12, v[12:13], off
	v_add_u32_e32 v0, 1, v0
	v_mad_i64_i32 v[10:11], s[8:9], v10, s4, v[6:7]
	v_cmp_ge_i32_e32 vcc, v0, v1
	v_mad_i64_i32 v[10:11], s[8:9], v9, 24, v[10:11]
	s_or_b64 s[0:1], vcc, s[0:1]
	v_add_co_u32_e32 v10, vcc, v10, v14
	v_addc_co_u32_e32 v11, vcc, v11, v15, vcc
	s_waitcnt vmcnt(1)
	v_mul_f32_e32 v9, 0xbfb8aa3b, v16
	v_fma_f32 v13, v16, s5, -v9
	v_rndne_f32_e32 v14, v9
	v_fmac_f32_e32 v13, 0xb2a5705f, v16
	v_sub_f32_e32 v9, v9, v14
	v_add_f32_e32 v9, v9, v13
	v_cvt_i32_f32_e32 v14, v14
	v_exp_f32_e32 v9, v9
	v_cmp_nlt_f32_e32 vcc, s6, v16
	v_ldexp_f32 v9, v9, v14
	v_cndmask_b32_e32 v9, 0, v9, vcc
	v_cmp_ngt_f32_e32 vcc, s7, v16
	v_cndmask_b32_e32 v9, v8, v9, vcc
	v_add_f32_e32 v9, 1.0, v9
	v_div_scale_f32 v13, s[8:9], v9, v9, 1.0
	v_rcp_f32_e32 v14, v13
	v_div_scale_f32 v15, vcc, 1.0, v9, 1.0
	v_fma_f32 v16, -v13, v14, 1.0
	v_fmac_f32_e32 v14, v16, v14
	v_mul_f32_e32 v16, v15, v14
	v_fma_f32 v17, -v13, v16, v15
	v_fmac_f32_e32 v16, v17, v14
	v_fma_f32 v13, -v13, v16, v15
	v_div_fmas_f32 v13, v13, v14, v16
	v_div_fixup_f32 v9, v13, v9, 1.0
	s_waitcnt vmcnt(0)
	v_mul_f32_e32 v12, v12, v9
	v_sub_f32_e32 v9, 1.0, v9
	v_mul_f32_e32 v9, v12, v9
	global_store_dword v[10:11], v9, off
	s_andn2_b64 exec, exec, s[0:1]
	s_cbranch_execnz .LBB12_2
.LBB12_3:
	s_endpgm
	.section	.rodata,"a",@progbits
	.p2align	6, 0x0
	.amdhsa_kernel _Z12bp_preact_s1PA6_A6_fS1_S1_
		.amdhsa_group_segment_fixed_size 0
		.amdhsa_private_segment_fixed_size 0
		.amdhsa_kernarg_size 280
		.amdhsa_user_sgpr_count 6
		.amdhsa_user_sgpr_private_segment_buffer 1
		.amdhsa_user_sgpr_dispatch_ptr 0
		.amdhsa_user_sgpr_queue_ptr 0
		.amdhsa_user_sgpr_kernarg_segment_ptr 1
		.amdhsa_user_sgpr_dispatch_id 0
		.amdhsa_user_sgpr_flat_scratch_init 0
		.amdhsa_user_sgpr_kernarg_preload_length 0
		.amdhsa_user_sgpr_kernarg_preload_offset 0
		.amdhsa_user_sgpr_private_segment_size 0
		.amdhsa_uses_dynamic_stack 0
		.amdhsa_system_sgpr_private_segment_wavefront_offset 0
		.amdhsa_system_sgpr_workgroup_id_x 1
		.amdhsa_system_sgpr_workgroup_id_y 0
		.amdhsa_system_sgpr_workgroup_id_z 0
		.amdhsa_system_sgpr_workgroup_info 0
		.amdhsa_system_vgpr_workitem_id 0
		.amdhsa_next_free_vgpr 18
		.amdhsa_next_free_sgpr 12
		.amdhsa_accum_offset 20
		.amdhsa_reserve_vcc 1
		.amdhsa_reserve_flat_scratch 0
		.amdhsa_float_round_mode_32 0
		.amdhsa_float_round_mode_16_64 0
		.amdhsa_float_denorm_mode_32 3
		.amdhsa_float_denorm_mode_16_64 3
		.amdhsa_dx10_clamp 1
		.amdhsa_ieee_mode 1
		.amdhsa_fp16_overflow 0
		.amdhsa_tg_split 0
		.amdhsa_exception_fp_ieee_invalid_op 0
		.amdhsa_exception_fp_denorm_src 0
		.amdhsa_exception_fp_ieee_div_zero 0
		.amdhsa_exception_fp_ieee_overflow 0
		.amdhsa_exception_fp_ieee_underflow 0
		.amdhsa_exception_fp_ieee_inexact 0
		.amdhsa_exception_int_div_zero 0
	.end_amdhsa_kernel
	.text
.Lfunc_end12:
	.size	_Z12bp_preact_s1PA6_A6_fS1_S1_, .Lfunc_end12-_Z12bp_preact_s1PA6_A6_fS1_S1_
                                        ; -- End function
	.section	.AMDGPU.csdata,"",@progbits
; Kernel info:
; codeLenInByte = 772
; NumSgprs: 16
; NumVgprs: 18
; NumAgprs: 0
; TotalNumVgprs: 18
; ScratchSize: 0
; MemoryBound: 0
; FloatMode: 240
; IeeeMode: 1
; LDSByteSize: 0 bytes/workgroup (compile time only)
; SGPRBlocks: 1
; VGPRBlocks: 2
; NumSGPRsForWavesPerEU: 16
; NumVGPRsForWavesPerEU: 18
; AccumOffset: 20
; Occupancy: 8
; WaveLimiterHint : 0
; COMPUTE_PGM_RSRC2:SCRATCH_EN: 0
; COMPUTE_PGM_RSRC2:USER_SGPR: 6
; COMPUTE_PGM_RSRC2:TRAP_HANDLER: 0
; COMPUTE_PGM_RSRC2:TGID_X_EN: 1
; COMPUTE_PGM_RSRC2:TGID_Y_EN: 0
; COMPUTE_PGM_RSRC2:TGID_Z_EN: 0
; COMPUTE_PGM_RSRC2:TIDIG_COMP_CNT: 0
; COMPUTE_PGM_RSRC3_GFX90A:ACCUM_OFFSET: 4
; COMPUTE_PGM_RSRC3_GFX90A:TG_SPLIT: 0
	.text
	.protected	_Z12bp_weight_s1PA4_A4_fPA6_A6_fPA24_A24_f ; -- Begin function _Z12bp_weight_s1PA4_A4_fPA6_A6_fPA24_A24_f
	.globl	_Z12bp_weight_s1PA4_A4_fPA6_A6_fPA24_A24_f
	.p2align	8
	.type	_Z12bp_weight_s1PA4_A4_fPA6_A6_fPA24_A24_f,@function
_Z12bp_weight_s1PA4_A4_fPA6_A6_fPA24_A24_f: ; @_Z12bp_weight_s1PA4_A4_fPA6_A6_fPA24_A24_f
; %bb.0:
	s_load_dword s0, s[4:5], 0x24
	s_load_dword s1, s[4:5], 0x18
	s_movk_i32 s2, 0xd80
	s_waitcnt lgkmcnt(0)
	s_and_b32 s0, s0, 0xffff
	s_mul_i32 s1, s1, s0
	s_abs_i32 s3, s1
	v_cvt_f32_u32_e32 v1, s3
	s_mul_i32 s6, s6, s0
	v_add_u32_e32 v0, s6, v0
	s_ashr_i32 s0, s1, 31
	v_rcp_iflag_f32_e32 v1, v1
	s_sub_i32 s1, 0, s3
	v_mul_lo_u32 v0, v0, s2
	v_sub_u32_e32 v3, 0, v0
	v_mul_f32_e32 v1, 0x4f7ffffe, v1
	v_cvt_u32_f32_e32 v1, v1
	v_max_i32_e32 v3, v0, v3
	v_ashrrev_i32_e32 v2, 31, v0
	v_xor_b32_e32 v2, s0, v2
	v_mul_lo_u32 v4, s1, v1
	v_mul_hi_u32 v4, v1, v4
	v_add_u32_e32 v1, v1, v4
	v_mul_hi_u32 v4, v3, v1
	v_mul_lo_u32 v5, v4, s3
	v_sub_u32_e32 v3, v3, v5
	v_add_u32_e32 v5, 1, v4
	v_cmp_le_u32_e32 vcc, s3, v3
	v_cndmask_b32_e32 v4, v4, v5, vcc
	v_subrev_u32_e32 v5, s3, v3
	v_cndmask_b32_e32 v3, v3, v5, vcc
	v_add_u32_e32 v5, 1, v4
	v_cmp_le_u32_e32 vcc, s3, v3
	v_cndmask_b32_e32 v3, v4, v5, vcc
	v_xor_b32_e32 v3, v3, v2
	v_add_u32_e32 v0, 0xd80, v0
	v_sub_u32_e32 v8, v3, v2
	v_sub_u32_e32 v3, 0, v0
	v_ashrrev_i32_e32 v2, 31, v0
	v_max_i32_e32 v0, v0, v3
	v_mul_hi_u32 v1, v0, v1
	v_mul_lo_u32 v3, v1, s3
	v_sub_u32_e32 v0, v0, v3
	v_add_u32_e32 v3, 1, v1
	v_cmp_le_u32_e32 vcc, s3, v0
	v_cndmask_b32_e32 v1, v1, v3, vcc
	v_subrev_u32_e32 v3, s3, v0
	v_cndmask_b32_e32 v0, v0, v3, vcc
	v_add_u32_e32 v3, 1, v1
	v_cmp_le_u32_e32 vcc, s3, v0
	v_xor_b32_e32 v2, s0, v2
	v_cndmask_b32_e32 v0, v1, v3, vcc
	v_xor_b32_e32 v0, v0, v2
	v_sub_u32_e32 v9, v0, v2
	v_cmp_lt_i32_e32 vcc, v8, v9
	s_and_saveexec_b64 s[0:1], vcc
	s_cbranch_execz .LBB13_5
; %bb.1:
	s_load_dwordx4 s[0:3], s[4:5], 0x0
	s_load_dwordx2 s[10:11], s[4:5], 0x10
	s_mov_b64 s[4:5], 0
	s_mov_b32 s6, 0x2aaaaaab
	s_mov_b32 s7, 0x38e38e39
	s_waitcnt lgkmcnt(0)
	v_mov_b32_e32 v10, s1
	s_movk_i32 s1, 0x90
	v_pk_mov_b32 v[0:1], s[2:3], s[2:3] op_sel:[0,1]
	s_movk_i32 s8, 0x900
	v_pk_mov_b32 v[2:3], s[10:11], s[10:11] op_sel:[0,1]
	s_movk_i32 s9, 0x60
.LBB13_2:                               ; =>This Loop Header: Depth=1
                                        ;     Child Loop BB13_3 Depth 2
	v_ashrrev_i32_e32 v5, 31, v8
	v_lshrrev_b32_e32 v4, 30, v5
	v_add_u32_e32 v4, v8, v4
	v_ashrrev_i32_e32 v6, 2, v4
	v_lshrrev_b32_e32 v7, 30, v6
	v_lshrrev_b32_e32 v5, 28, v5
	v_add_u32_e32 v7, v6, v7
	v_add_u32_e32 v5, v8, v5
	v_and_b32_e32 v7, -4, v7
	v_ashrrev_i32_e32 v5, 4, v5
	v_sub_u32_e32 v6, v6, v7
	v_mul_hi_i32 v7, v5, s6
	v_lshrrev_b32_e32 v11, 31, v7
	v_add_u32_e32 v7, v7, v11
	v_mul_lo_u32 v7, v7, 6
	v_sub_u32_e32 v11, v5, v7
	v_mul_hi_i32 v5, v8, s6
	v_lshrrev_b32_e32 v7, 31, v5
	v_ashrrev_i32_e32 v5, 4, v5
	v_add_u32_e32 v5, v5, v7
	v_mul_hi_i32 v7, v5, s6
	v_lshrrev_b32_e32 v12, 31, v7
	v_add_u32_e32 v7, v7, v12
	v_mul_lo_u32 v7, v7, 6
	v_sub_u32_e32 v20, v5, v7
	v_mul_hi_i32 v5, v8, s7
	v_lshrrev_b32_e32 v7, 31, v5
	v_ashrrev_i32_e32 v5, 7, v5
	v_add_u32_e32 v5, v5, v7
	v_mul_hi_i32 v7, v5, s6
	v_lshrrev_b32_e32 v12, 31, v7
	v_and_b32_e32 v4, -4, v4
	v_add_u32_e32 v7, v7, v12
	v_sub_u32_e32 v4, v8, v4
	v_mul_lo_u32 v7, v7, 6
	v_sub_u32_e32 v12, v5, v7
	v_ashrrev_i32_e32 v5, 31, v4
	v_lshlrev_b64 v[16:17], 4, v[4:5]
	v_add_co_u32_e32 v21, vcc, s0, v16
	v_ashrrev_i32_e32 v13, 31, v12
	v_mad_i64_i32 v[18:19], s[2:3], v11, s1, v[0:1]
	v_addc_co_u32_e32 v22, vcc, v10, v17, vcc
	v_lshlrev_b64 v[16:17], 2, v[12:13]
	v_mad_i64_i32 v[18:19], s[2:3], v20, 24, v[18:19]
	v_add_co_u32_e32 v16, vcc, v18, v16
	v_addc_co_u32_e32 v17, vcc, v19, v17, vcc
	v_ashrrev_i32_e32 v7, 31, v6
	global_load_dword v13, v[16:17], off
	v_lshl_add_u32 v16, v20, 2, v4
	v_lshl_add_u32 v4, v12, 2, v6
	v_lshlrev_b64 v[14:15], 2, v[6:7]
	v_ashrrev_i32_e32 v5, 31, v4
	v_mad_i64_i32 v[6:7], s[2:3], v11, s8, v[2:3]
	v_lshlrev_b64 v[4:5], 2, v[4:5]
	v_mad_i64_i32 v[6:7], s[2:3], v16, s9, v[6:7]
	v_add_co_u32_e32 v4, vcc, v6, v4
	v_addc_co_u32_e32 v5, vcc, v7, v5, vcc
	global_load_dword v6, v[4:5], off
	v_add_co_u32_e32 v4, vcc, v21, v14
	v_addc_co_u32_e32 v5, vcc, v22, v15, vcc
	global_load_dword v7, v[4:5], off
	s_mov_b64 s[2:3], 0
	s_waitcnt vmcnt(1)
	v_mul_f32_e32 v11, v13, v6
.LBB13_3:                               ;   Parent Loop BB13_2 Depth=1
                                        ; =>  This Inner Loop Header: Depth=2
	s_waitcnt vmcnt(0)
	v_add_f32_e32 v6, v7, v11
	global_atomic_cmpswap v6, v[4:5], v[6:7], off glc
	s_waitcnt vmcnt(0)
	v_cmp_eq_u32_e32 vcc, v6, v7
	s_or_b64 s[2:3], vcc, s[2:3]
	v_mov_b32_e32 v7, v6
	s_andn2_b64 exec, exec, s[2:3]
	s_cbranch_execnz .LBB13_3
; %bb.4:                                ;   in Loop: Header=BB13_2 Depth=1
	s_or_b64 exec, exec, s[2:3]
	v_add_u32_e32 v8, 1, v8
	v_cmp_ge_i32_e32 vcc, v8, v9
	s_or_b64 s[4:5], vcc, s[4:5]
	s_andn2_b64 exec, exec, s[4:5]
	s_cbranch_execnz .LBB13_2
.LBB13_5:
	s_endpgm
	.section	.rodata,"a",@progbits
	.p2align	6, 0x0
	.amdhsa_kernel _Z12bp_weight_s1PA4_A4_fPA6_A6_fPA24_A24_f
		.amdhsa_group_segment_fixed_size 0
		.amdhsa_private_segment_fixed_size 0
		.amdhsa_kernarg_size 280
		.amdhsa_user_sgpr_count 6
		.amdhsa_user_sgpr_private_segment_buffer 1
		.amdhsa_user_sgpr_dispatch_ptr 0
		.amdhsa_user_sgpr_queue_ptr 0
		.amdhsa_user_sgpr_kernarg_segment_ptr 1
		.amdhsa_user_sgpr_dispatch_id 0
		.amdhsa_user_sgpr_flat_scratch_init 0
		.amdhsa_user_sgpr_kernarg_preload_length 0
		.amdhsa_user_sgpr_kernarg_preload_offset 0
		.amdhsa_user_sgpr_private_segment_size 0
		.amdhsa_uses_dynamic_stack 0
		.amdhsa_system_sgpr_private_segment_wavefront_offset 0
		.amdhsa_system_sgpr_workgroup_id_x 1
		.amdhsa_system_sgpr_workgroup_id_y 0
		.amdhsa_system_sgpr_workgroup_id_z 0
		.amdhsa_system_sgpr_workgroup_info 0
		.amdhsa_system_vgpr_workitem_id 0
		.amdhsa_next_free_vgpr 23
		.amdhsa_next_free_sgpr 12
		.amdhsa_accum_offset 24
		.amdhsa_reserve_vcc 1
		.amdhsa_reserve_flat_scratch 0
		.amdhsa_float_round_mode_32 0
		.amdhsa_float_round_mode_16_64 0
		.amdhsa_float_denorm_mode_32 3
		.amdhsa_float_denorm_mode_16_64 3
		.amdhsa_dx10_clamp 1
		.amdhsa_ieee_mode 1
		.amdhsa_fp16_overflow 0
		.amdhsa_tg_split 0
		.amdhsa_exception_fp_ieee_invalid_op 0
		.amdhsa_exception_fp_denorm_src 0
		.amdhsa_exception_fp_ieee_div_zero 0
		.amdhsa_exception_fp_ieee_overflow 0
		.amdhsa_exception_fp_ieee_underflow 0
		.amdhsa_exception_fp_ieee_inexact 0
		.amdhsa_exception_int_div_zero 0
	.end_amdhsa_kernel
	.text
.Lfunc_end13:
	.size	_Z12bp_weight_s1PA4_A4_fPA6_A6_fPA24_A24_f, .Lfunc_end13-_Z12bp_weight_s1PA4_A4_fPA6_A6_fPA24_A24_f
                                        ; -- End function
	.section	.AMDGPU.csdata,"",@progbits
; Kernel info:
; codeLenInByte = 756
; NumSgprs: 16
; NumVgprs: 23
; NumAgprs: 0
; TotalNumVgprs: 23
; ScratchSize: 0
; MemoryBound: 0
; FloatMode: 240
; IeeeMode: 1
; LDSByteSize: 0 bytes/workgroup (compile time only)
; SGPRBlocks: 1
; VGPRBlocks: 2
; NumSGPRsForWavesPerEU: 16
; NumVGPRsForWavesPerEU: 23
; AccumOffset: 24
; Occupancy: 8
; WaveLimiterHint : 0
; COMPUTE_PGM_RSRC2:SCRATCH_EN: 0
; COMPUTE_PGM_RSRC2:USER_SGPR: 6
; COMPUTE_PGM_RSRC2:TRAP_HANDLER: 0
; COMPUTE_PGM_RSRC2:TGID_X_EN: 1
; COMPUTE_PGM_RSRC2:TGID_Y_EN: 0
; COMPUTE_PGM_RSRC2:TGID_Z_EN: 0
; COMPUTE_PGM_RSRC2:TIDIG_COMP_CNT: 0
; COMPUTE_PGM_RSRC3_GFX90A:ACCUM_OFFSET: 5
; COMPUTE_PGM_RSRC3_GFX90A:TG_SPLIT: 0
	.text
	.protected	_Z10bp_bias_s1PfPA6_A6_f ; -- Begin function _Z10bp_bias_s1PfPA6_A6_f
	.globl	_Z10bp_bias_s1PfPA6_A6_f
	.p2align	8
	.type	_Z10bp_bias_s1PfPA6_A6_f,@function
_Z10bp_bias_s1PfPA6_A6_f:               ; @_Z10bp_bias_s1PfPA6_A6_f
; %bb.0:
	s_load_dword s0, s[4:5], 0x1c
	s_load_dword s1, s[4:5], 0x10
	s_movk_i32 s2, 0xd8
	s_waitcnt lgkmcnt(0)
	s_and_b32 s0, s0, 0xffff
	s_mul_i32 s1, s1, s0
	s_abs_i32 s3, s1
	v_cvt_f32_u32_e32 v1, s3
	s_mul_i32 s6, s6, s0
	v_add_u32_e32 v0, s6, v0
	s_ashr_i32 s0, s1, 31
	v_rcp_iflag_f32_e32 v1, v1
	s_sub_i32 s1, 0, s3
	v_mul_lo_u32 v0, v0, s2
	v_sub_u32_e32 v3, 0, v0
	v_mul_f32_e32 v1, 0x4f7ffffe, v1
	v_cvt_u32_f32_e32 v1, v1
	v_max_i32_e32 v3, v0, v3
	v_ashrrev_i32_e32 v2, 31, v0
	v_xor_b32_e32 v2, s0, v2
	v_mul_lo_u32 v4, s1, v1
	v_mul_hi_u32 v4, v1, v4
	v_add_u32_e32 v1, v1, v4
	v_mul_hi_u32 v4, v3, v1
	v_mul_lo_u32 v5, v4, s3
	v_sub_u32_e32 v3, v3, v5
	v_add_u32_e32 v5, 1, v4
	v_cmp_le_u32_e32 vcc, s3, v3
	v_cndmask_b32_e32 v4, v4, v5, vcc
	v_subrev_u32_e32 v5, s3, v3
	v_cndmask_b32_e32 v3, v3, v5, vcc
	v_add_u32_e32 v5, 1, v4
	v_cmp_le_u32_e32 vcc, s3, v3
	v_cndmask_b32_e32 v3, v4, v5, vcc
	v_xor_b32_e32 v3, v3, v2
	v_add_u32_e32 v0, 0xd8, v0
	v_sub_u32_e32 v4, v3, v2
	v_sub_u32_e32 v3, 0, v0
	v_ashrrev_i32_e32 v2, 31, v0
	v_max_i32_e32 v0, v0, v3
	v_mul_hi_u32 v1, v0, v1
	v_mul_lo_u32 v3, v1, s3
	v_sub_u32_e32 v0, v0, v3
	v_add_u32_e32 v3, 1, v1
	v_cmp_le_u32_e32 vcc, s3, v0
	v_cndmask_b32_e32 v1, v1, v3, vcc
	v_subrev_u32_e32 v3, s3, v0
	v_cndmask_b32_e32 v0, v0, v3, vcc
	v_add_u32_e32 v3, 1, v1
	v_cmp_le_u32_e32 vcc, s3, v0
	v_xor_b32_e32 v2, s0, v2
	v_cndmask_b32_e32 v0, v1, v3, vcc
	v_xor_b32_e32 v0, v0, v2
	v_sub_u32_e32 v5, v0, v2
	v_cmp_lt_i32_e32 vcc, v4, v5
	s_and_saveexec_b64 s[0:1], vcc
	s_cbranch_execz .LBB14_9
; %bb.1:
	s_load_dwordx4 s[0:3], s[4:5], 0x0
	s_mov_b64 s[4:5], 0
	s_mov_b32 s8, 0x2aaaaaab
	s_mov_b32 s9, 0x38e38e39
	s_movk_i32 s10, 0x90
	s_waitcnt lgkmcnt(0)
	v_pk_mov_b32 v[0:1], s[2:3], s[2:3] op_sel:[0,1]
	s_mov_b32 s11, 0x43580000
	v_mov_b32_e32 v6, 0
	s_branch .LBB14_3
.LBB14_2:                               ;   in Loop: Header=BB14_3 Depth=1
	s_or_b64 exec, exec, s[2:3]
	v_add_u32_e32 v4, 1, v4
	v_cmp_ge_i32_e32 vcc, v4, v5
	s_or_b64 s[4:5], vcc, s[4:5]
	s_andn2_b64 exec, exec, s[4:5]
	s_cbranch_execz .LBB14_9
.LBB14_3:                               ; =>This Loop Header: Depth=1
                                        ;     Child Loop BB14_4 Depth 2
                                        ;     Child Loop BB14_7 Depth 2
	v_mul_hi_i32 v2, v4, s8
	v_lshrrev_b32_e32 v3, 31, v2
	v_add_u32_e32 v2, v2, v3
	v_mul_lo_u32 v3, v2, 6
	v_sub_u32_e32 v7, v4, v3
	v_mul_hi_i32 v3, v2, s8
	v_lshrrev_b32_e32 v8, 31, v3
	v_add_u32_e32 v3, v3, v8
	v_mul_lo_u32 v3, v3, 6
	v_sub_u32_e32 v10, v2, v3
	v_mul_hi_i32 v2, v4, s9
	v_lshrrev_b32_e32 v3, 31, v2
	v_ashrrev_i32_e32 v2, 3, v2
	v_add_u32_e32 v2, v2, v3
	v_mul_hi_i32 v3, v2, s8
	v_lshrrev_b32_e32 v8, 31, v3
	v_add_u32_e32 v3, v3, v8
	v_mul_lo_u32 v3, v3, 6
	v_sub_u32_e32 v2, v2, v3
	v_ashrrev_i32_e32 v3, 31, v2
	v_mad_i64_i32 v[8:9], s[6:7], v7, s10, v[0:1]
	v_lshlrev_b64 v[2:3], 2, v[2:3]
	v_mad_i64_i32 v[8:9], s[6:7], v10, 24, v[8:9]
	v_add_co_u32_e32 v2, vcc, v8, v2
	v_addc_co_u32_e32 v3, vcc, v9, v3, vcc
	global_load_dword v2, v[2:3], off
	s_mov_b64 s[2:3], exec
	s_waitcnt vmcnt(0)
	v_mul_f32_e32 v2, 0x3dcccccd, v2
	v_div_scale_f32 v3, s[6:7], s11, s11, v2
	v_rcp_f32_e32 v7, v3
	v_div_scale_f32 v8, vcc, v2, s11, v2
	v_fma_f32 v9, -v3, v7, 1.0
	v_fmac_f32_e32 v7, v9, v7
	v_mul_f32_e32 v9, v8, v7
	v_fma_f32 v10, -v3, v9, v8
	v_fmac_f32_e32 v9, v10, v7
	v_fma_f32 v3, -v3, v9, v8
	v_div_fmas_f32 v3, v3, v7, v9
	v_div_fixup_f32 v2, v3, s11, v2
	v_bfrev_b32_e32 v7, 1
.LBB14_4:                               ;   Parent Loop BB14_3 Depth=1
                                        ; =>  This Inner Loop Header: Depth=2
	s_ff1_i32_b64 s6, s[2:3]
	v_readlane_b32 s12, v2, s6
	s_lshl_b64 s[6:7], 1, s6
	s_andn2_b64 s[2:3], s[2:3], s[6:7]
	s_cmp_lg_u64 s[2:3], 0
	v_add_f32_e32 v7, s12, v7
	s_cbranch_scc1 .LBB14_4
; %bb.5:                                ;   in Loop: Header=BB14_3 Depth=1
	v_mbcnt_lo_u32_b32 v2, exec_lo, 0
	v_mbcnt_hi_u32_b32 v2, exec_hi, v2
	v_cmp_eq_u32_e32 vcc, 0, v2
	s_and_saveexec_b64 s[2:3], vcc
	s_xor_b64 s[2:3], exec, s[2:3]
	s_cbranch_execz .LBB14_2
; %bb.6:                                ;   in Loop: Header=BB14_3 Depth=1
	global_load_dword v3, v6, s[0:1]
	s_mov_b64 s[6:7], 0
.LBB14_7:                               ;   Parent Loop BB14_3 Depth=1
                                        ; =>  This Inner Loop Header: Depth=2
	s_waitcnt vmcnt(0)
	v_add_f32_e32 v2, v3, v7
	global_atomic_cmpswap v2, v6, v[2:3], s[0:1] glc
	s_waitcnt vmcnt(0)
	v_cmp_eq_u32_e32 vcc, v2, v3
	s_or_b64 s[6:7], vcc, s[6:7]
	v_mov_b32_e32 v3, v2
	s_andn2_b64 exec, exec, s[6:7]
	s_cbranch_execnz .LBB14_7
; %bb.8:                                ;   in Loop: Header=BB14_3 Depth=1
	s_or_b64 exec, exec, s[6:7]
	s_branch .LBB14_2
.LBB14_9:
	s_endpgm
	.section	.rodata,"a",@progbits
	.p2align	6, 0x0
	.amdhsa_kernel _Z10bp_bias_s1PfPA6_A6_f
		.amdhsa_group_segment_fixed_size 0
		.amdhsa_private_segment_fixed_size 0
		.amdhsa_kernarg_size 272
		.amdhsa_user_sgpr_count 6
		.amdhsa_user_sgpr_private_segment_buffer 1
		.amdhsa_user_sgpr_dispatch_ptr 0
		.amdhsa_user_sgpr_queue_ptr 0
		.amdhsa_user_sgpr_kernarg_segment_ptr 1
		.amdhsa_user_sgpr_dispatch_id 0
		.amdhsa_user_sgpr_flat_scratch_init 0
		.amdhsa_user_sgpr_kernarg_preload_length 0
		.amdhsa_user_sgpr_kernarg_preload_offset 0
		.amdhsa_user_sgpr_private_segment_size 0
		.amdhsa_uses_dynamic_stack 0
		.amdhsa_system_sgpr_private_segment_wavefront_offset 0
		.amdhsa_system_sgpr_workgroup_id_x 1
		.amdhsa_system_sgpr_workgroup_id_y 0
		.amdhsa_system_sgpr_workgroup_id_z 0
		.amdhsa_system_sgpr_workgroup_info 0
		.amdhsa_system_vgpr_workitem_id 0
		.amdhsa_next_free_vgpr 11
		.amdhsa_next_free_sgpr 13
		.amdhsa_accum_offset 12
		.amdhsa_reserve_vcc 1
		.amdhsa_reserve_flat_scratch 0
		.amdhsa_float_round_mode_32 0
		.amdhsa_float_round_mode_16_64 0
		.amdhsa_float_denorm_mode_32 3
		.amdhsa_float_denorm_mode_16_64 3
		.amdhsa_dx10_clamp 1
		.amdhsa_ieee_mode 1
		.amdhsa_fp16_overflow 0
		.amdhsa_tg_split 0
		.amdhsa_exception_fp_ieee_invalid_op 0
		.amdhsa_exception_fp_denorm_src 0
		.amdhsa_exception_fp_ieee_div_zero 0
		.amdhsa_exception_fp_ieee_overflow 0
		.amdhsa_exception_fp_ieee_underflow 0
		.amdhsa_exception_fp_ieee_inexact 0
		.amdhsa_exception_int_div_zero 0
	.end_amdhsa_kernel
	.text
.Lfunc_end14:
	.size	_Z10bp_bias_s1PfPA6_A6_f, .Lfunc_end14-_Z10bp_bias_s1PfPA6_A6_f
                                        ; -- End function
	.section	.AMDGPU.csdata,"",@progbits
; Kernel info:
; codeLenInByte = 728
; NumSgprs: 17
; NumVgprs: 11
; NumAgprs: 0
; TotalNumVgprs: 11
; ScratchSize: 0
; MemoryBound: 0
; FloatMode: 240
; IeeeMode: 1
; LDSByteSize: 0 bytes/workgroup (compile time only)
; SGPRBlocks: 2
; VGPRBlocks: 1
; NumSGPRsForWavesPerEU: 17
; NumVGPRsForWavesPerEU: 11
; AccumOffset: 12
; Occupancy: 8
; WaveLimiterHint : 0
; COMPUTE_PGM_RSRC2:SCRATCH_EN: 0
; COMPUTE_PGM_RSRC2:USER_SGPR: 6
; COMPUTE_PGM_RSRC2:TRAP_HANDLER: 0
; COMPUTE_PGM_RSRC2:TGID_X_EN: 1
; COMPUTE_PGM_RSRC2:TGID_Y_EN: 0
; COMPUTE_PGM_RSRC2:TGID_Z_EN: 0
; COMPUTE_PGM_RSRC2:TIDIG_COMP_CNT: 0
; COMPUTE_PGM_RSRC3_GFX90A:ACCUM_OFFSET: 2
; COMPUTE_PGM_RSRC3_GFX90A:TG_SPLIT: 0
	.text
	.protected	_Z12bp_output_c1PA24_A24_fPA4_A4_fPA6_A6_f ; -- Begin function _Z12bp_output_c1PA24_A24_fPA4_A4_fPA6_A6_f
	.globl	_Z12bp_output_c1PA24_A24_fPA4_A4_fPA6_A6_f
	.p2align	8
	.type	_Z12bp_output_c1PA24_A24_fPA4_A4_fPA6_A6_f,@function
_Z12bp_output_c1PA24_A24_fPA4_A4_fPA6_A6_f: ; @_Z12bp_output_c1PA24_A24_fPA4_A4_fPA6_A6_f
; %bb.0:
	s_load_dword s0, s[4:5], 0x24
	s_load_dword s1, s[4:5], 0x18
	s_movk_i32 s2, 0xd80
	s_waitcnt lgkmcnt(0)
	s_and_b32 s0, s0, 0xffff
	s_mul_i32 s1, s1, s0
	s_abs_i32 s3, s1
	v_cvt_f32_u32_e32 v1, s3
	s_mul_i32 s6, s6, s0
	v_add_u32_e32 v0, s6, v0
	s_ashr_i32 s0, s1, 31
	v_rcp_iflag_f32_e32 v1, v1
	s_sub_i32 s1, 0, s3
	v_mul_lo_u32 v0, v0, s2
	v_sub_u32_e32 v3, 0, v0
	v_mul_f32_e32 v1, 0x4f7ffffe, v1
	v_cvt_u32_f32_e32 v1, v1
	v_max_i32_e32 v3, v0, v3
	v_ashrrev_i32_e32 v2, 31, v0
	v_xor_b32_e32 v2, s0, v2
	v_mul_lo_u32 v4, s1, v1
	v_mul_hi_u32 v4, v1, v4
	v_add_u32_e32 v1, v1, v4
	v_mul_hi_u32 v4, v3, v1
	v_mul_lo_u32 v5, v4, s3
	v_sub_u32_e32 v3, v3, v5
	v_add_u32_e32 v5, 1, v4
	v_cmp_le_u32_e32 vcc, s3, v3
	v_cndmask_b32_e32 v4, v4, v5, vcc
	v_subrev_u32_e32 v5, s3, v3
	v_cndmask_b32_e32 v3, v3, v5, vcc
	v_add_u32_e32 v5, 1, v4
	v_cmp_le_u32_e32 vcc, s3, v3
	v_cndmask_b32_e32 v3, v4, v5, vcc
	v_xor_b32_e32 v3, v3, v2
	v_add_u32_e32 v0, 0xd80, v0
	v_sub_u32_e32 v8, v3, v2
	v_sub_u32_e32 v3, 0, v0
	v_ashrrev_i32_e32 v2, 31, v0
	v_max_i32_e32 v0, v0, v3
	v_mul_hi_u32 v1, v0, v1
	v_mul_lo_u32 v3, v1, s3
	v_sub_u32_e32 v0, v0, v3
	v_add_u32_e32 v3, 1, v1
	v_cmp_le_u32_e32 vcc, s3, v0
	v_cndmask_b32_e32 v1, v1, v3, vcc
	v_subrev_u32_e32 v3, s3, v0
	v_cndmask_b32_e32 v0, v0, v3, vcc
	v_add_u32_e32 v3, 1, v1
	v_cmp_le_u32_e32 vcc, s3, v0
	v_xor_b32_e32 v2, s0, v2
	v_cndmask_b32_e32 v0, v1, v3, vcc
	v_xor_b32_e32 v0, v0, v2
	v_sub_u32_e32 v9, v0, v2
	v_cmp_lt_i32_e32 vcc, v8, v9
	s_and_saveexec_b64 s[0:1], vcc
	s_cbranch_execz .LBB15_5
; %bb.1:
	s_load_dwordx4 s[0:3], s[4:5], 0x0
	s_load_dwordx2 s[10:11], s[4:5], 0x10
	s_mov_b64 s[4:5], 0
	s_mov_b32 s6, 0x2aaaaaab
	s_mov_b32 s7, 0x38e38e39
	s_movk_i32 s8, 0x900
	s_waitcnt lgkmcnt(0)
	v_pk_mov_b32 v[0:1], s[0:1], s[0:1] op_sel:[0,1]
	s_movk_i32 s9, 0x60
	v_mov_b32_e32 v10, s3
	s_movk_i32 s3, 0x90
	v_pk_mov_b32 v[2:3], s[10:11], s[10:11] op_sel:[0,1]
.LBB15_2:                               ; =>This Loop Header: Depth=1
                                        ;     Child Loop BB15_3 Depth 2
	v_ashrrev_i32_e32 v5, 31, v8
	v_lshrrev_b32_e32 v4, 30, v5
	v_add_u32_e32 v4, v8, v4
	v_ashrrev_i32_e32 v6, 2, v4
	v_lshrrev_b32_e32 v7, 30, v6
	v_lshrrev_b32_e32 v5, 28, v5
	v_add_u32_e32 v7, v6, v7
	v_add_u32_e32 v5, v8, v5
	v_and_b32_e32 v7, -4, v7
	v_ashrrev_i32_e32 v5, 4, v5
	v_sub_u32_e32 v6, v6, v7
	v_mul_hi_i32 v7, v5, s6
	v_lshrrev_b32_e32 v11, 31, v7
	v_add_u32_e32 v7, v7, v11
	v_mul_lo_u32 v7, v7, 6
	v_sub_u32_e32 v11, v5, v7
	v_mul_hi_i32 v5, v8, s6
	v_lshrrev_b32_e32 v7, 31, v5
	v_ashrrev_i32_e32 v5, 4, v5
	v_add_u32_e32 v5, v5, v7
	v_mul_hi_i32 v7, v5, s6
	v_lshrrev_b32_e32 v12, 31, v7
	v_add_u32_e32 v7, v7, v12
	v_mul_lo_u32 v7, v7, 6
	v_sub_u32_e32 v18, v5, v7
	v_mul_hi_i32 v5, v8, s7
	v_lshrrev_b32_e32 v7, 31, v5
	v_ashrrev_i32_e32 v5, 7, v5
	v_add_u32_e32 v5, v5, v7
	v_mul_hi_i32 v7, v5, s6
	v_lshrrev_b32_e32 v12, 31, v7
	v_and_b32_e32 v4, -4, v4
	v_add_u32_e32 v7, v7, v12
	v_sub_u32_e32 v4, v8, v4
	v_mul_lo_u32 v7, v7, 6
	v_sub_u32_e32 v12, v5, v7
	v_lshl_add_u32 v5, v18, 2, v4
	v_mad_i64_i32 v[16:17], s[0:1], v11, s8, v[0:1]
	v_mad_i64_i32 v[16:17], s[0:1], v5, s9, v[16:17]
	v_ashrrev_i32_e32 v5, 31, v4
	v_lshlrev_b64 v[4:5], 4, v[4:5]
	v_ashrrev_i32_e32 v7, 31, v6
	v_add_co_u32_e32 v4, vcc, s2, v4
	v_lshl_add_u32 v14, v12, 2, v6
	v_lshlrev_b64 v[6:7], 2, v[6:7]
	v_addc_co_u32_e32 v5, vcc, v10, v5, vcc
	v_add_co_u32_e32 v4, vcc, v4, v6
	v_addc_co_u32_e32 v5, vcc, v5, v7, vcc
	v_ashrrev_i32_e32 v13, 31, v12
	v_mad_i64_i32 v[6:7], s[0:1], v11, s3, v[2:3]
	global_load_dword v19, v[4:5], off
	v_lshlrev_b64 v[4:5], 2, v[12:13]
	v_mad_i64_i32 v[6:7], s[0:1], v18, 24, v[6:7]
	v_ashrrev_i32_e32 v15, 31, v14
	v_add_co_u32_e32 v4, vcc, v6, v4
	v_lshlrev_b64 v[14:15], 2, v[14:15]
	v_addc_co_u32_e32 v5, vcc, v7, v5, vcc
	global_load_dword v6, v[4:5], off
	v_add_co_u32_e32 v4, vcc, v16, v14
	v_addc_co_u32_e32 v5, vcc, v17, v15, vcc
	global_load_dword v7, v[4:5], off
	s_mov_b64 s[0:1], 0
	s_waitcnt vmcnt(1)
	v_mul_f32_e32 v11, v19, v6
.LBB15_3:                               ;   Parent Loop BB15_2 Depth=1
                                        ; =>  This Inner Loop Header: Depth=2
	s_waitcnt vmcnt(0)
	v_add_f32_e32 v6, v7, v11
	global_atomic_cmpswap v6, v[4:5], v[6:7], off glc
	s_waitcnt vmcnt(0)
	v_cmp_eq_u32_e32 vcc, v6, v7
	s_or_b64 s[0:1], vcc, s[0:1]
	v_mov_b32_e32 v7, v6
	s_andn2_b64 exec, exec, s[0:1]
	s_cbranch_execnz .LBB15_3
; %bb.4:                                ;   in Loop: Header=BB15_2 Depth=1
	s_or_b64 exec, exec, s[0:1]
	v_add_u32_e32 v8, 1, v8
	v_cmp_ge_i32_e32 vcc, v8, v9
	s_or_b64 s[4:5], vcc, s[4:5]
	s_andn2_b64 exec, exec, s[4:5]
	s_cbranch_execnz .LBB15_2
.LBB15_5:
	s_endpgm
	.section	.rodata,"a",@progbits
	.p2align	6, 0x0
	.amdhsa_kernel _Z12bp_output_c1PA24_A24_fPA4_A4_fPA6_A6_f
		.amdhsa_group_segment_fixed_size 0
		.amdhsa_private_segment_fixed_size 0
		.amdhsa_kernarg_size 280
		.amdhsa_user_sgpr_count 6
		.amdhsa_user_sgpr_private_segment_buffer 1
		.amdhsa_user_sgpr_dispatch_ptr 0
		.amdhsa_user_sgpr_queue_ptr 0
		.amdhsa_user_sgpr_kernarg_segment_ptr 1
		.amdhsa_user_sgpr_dispatch_id 0
		.amdhsa_user_sgpr_flat_scratch_init 0
		.amdhsa_user_sgpr_kernarg_preload_length 0
		.amdhsa_user_sgpr_kernarg_preload_offset 0
		.amdhsa_user_sgpr_private_segment_size 0
		.amdhsa_uses_dynamic_stack 0
		.amdhsa_system_sgpr_private_segment_wavefront_offset 0
		.amdhsa_system_sgpr_workgroup_id_x 1
		.amdhsa_system_sgpr_workgroup_id_y 0
		.amdhsa_system_sgpr_workgroup_id_z 0
		.amdhsa_system_sgpr_workgroup_info 0
		.amdhsa_system_vgpr_workitem_id 0
		.amdhsa_next_free_vgpr 20
		.amdhsa_next_free_sgpr 12
		.amdhsa_accum_offset 20
		.amdhsa_reserve_vcc 1
		.amdhsa_reserve_flat_scratch 0
		.amdhsa_float_round_mode_32 0
		.amdhsa_float_round_mode_16_64 0
		.amdhsa_float_denorm_mode_32 3
		.amdhsa_float_denorm_mode_16_64 3
		.amdhsa_dx10_clamp 1
		.amdhsa_ieee_mode 1
		.amdhsa_fp16_overflow 0
		.amdhsa_tg_split 0
		.amdhsa_exception_fp_ieee_invalid_op 0
		.amdhsa_exception_fp_denorm_src 0
		.amdhsa_exception_fp_ieee_div_zero 0
		.amdhsa_exception_fp_ieee_overflow 0
		.amdhsa_exception_fp_ieee_underflow 0
		.amdhsa_exception_fp_ieee_inexact 0
		.amdhsa_exception_int_div_zero 0
	.end_amdhsa_kernel
	.text
.Lfunc_end15:
	.size	_Z12bp_output_c1PA24_A24_fPA4_A4_fPA6_A6_f, .Lfunc_end15-_Z12bp_output_c1PA24_A24_fPA4_A4_fPA6_A6_f
                                        ; -- End function
	.section	.AMDGPU.csdata,"",@progbits
; Kernel info:
; codeLenInByte = 756
; NumSgprs: 16
; NumVgprs: 20
; NumAgprs: 0
; TotalNumVgprs: 20
; ScratchSize: 0
; MemoryBound: 0
; FloatMode: 240
; IeeeMode: 1
; LDSByteSize: 0 bytes/workgroup (compile time only)
; SGPRBlocks: 1
; VGPRBlocks: 2
; NumSGPRsForWavesPerEU: 16
; NumVGPRsForWavesPerEU: 20
; AccumOffset: 20
; Occupancy: 8
; WaveLimiterHint : 0
; COMPUTE_PGM_RSRC2:SCRATCH_EN: 0
; COMPUTE_PGM_RSRC2:USER_SGPR: 6
; COMPUTE_PGM_RSRC2:TRAP_HANDLER: 0
; COMPUTE_PGM_RSRC2:TGID_X_EN: 1
; COMPUTE_PGM_RSRC2:TGID_Y_EN: 0
; COMPUTE_PGM_RSRC2:TGID_Z_EN: 0
; COMPUTE_PGM_RSRC2:TIDIG_COMP_CNT: 0
; COMPUTE_PGM_RSRC3_GFX90A:ACCUM_OFFSET: 4
; COMPUTE_PGM_RSRC3_GFX90A:TG_SPLIT: 0
	.text
	.protected	_Z12bp_preact_c1PA24_A24_fS1_S1_ ; -- Begin function _Z12bp_preact_c1PA24_A24_fS1_S1_
	.globl	_Z12bp_preact_c1PA24_A24_fS1_S1_
	.p2align	8
	.type	_Z12bp_preact_c1PA24_A24_fS1_S1_,@function
_Z12bp_preact_c1PA24_A24_fS1_S1_:       ; @_Z12bp_preact_c1PA24_A24_fS1_S1_
; %bb.0:
	s_load_dword s0, s[4:5], 0x24
	s_load_dword s1, s[4:5], 0x18
	s_movk_i32 s2, 0xd80
	s_waitcnt lgkmcnt(0)
	s_and_b32 s0, s0, 0xffff
	s_mul_i32 s1, s1, s0
	s_abs_i32 s3, s1
	v_cvt_f32_u32_e32 v1, s3
	s_mul_i32 s6, s6, s0
	v_add_u32_e32 v0, s6, v0
	s_ashr_i32 s0, s1, 31
	v_rcp_iflag_f32_e32 v1, v1
	s_sub_i32 s1, 0, s3
	v_mul_lo_u32 v2, v0, s2
	v_sub_u32_e32 v3, 0, v2
	v_mul_f32_e32 v1, 0x4f7ffffe, v1
	v_cvt_u32_f32_e32 v1, v1
	v_max_i32_e32 v3, v2, v3
	v_ashrrev_i32_e32 v0, 31, v2
	v_xor_b32_e32 v0, s0, v0
	v_mul_lo_u32 v4, s1, v1
	v_mul_hi_u32 v4, v1, v4
	v_add_u32_e32 v1, v1, v4
	v_mul_hi_u32 v4, v3, v1
	v_mul_lo_u32 v5, v4, s3
	v_sub_u32_e32 v3, v3, v5
	v_add_u32_e32 v5, 1, v4
	v_cmp_le_u32_e32 vcc, s3, v3
	v_cndmask_b32_e32 v4, v4, v5, vcc
	v_subrev_u32_e32 v5, s3, v3
	v_cndmask_b32_e32 v3, v3, v5, vcc
	v_add_u32_e32 v5, 1, v4
	v_cmp_le_u32_e32 vcc, s3, v3
	v_cndmask_b32_e32 v3, v4, v5, vcc
	v_add_u32_e32 v2, 0xd80, v2
	v_xor_b32_e32 v3, v3, v0
	v_sub_u32_e32 v4, 0, v2
	v_sub_u32_e32 v0, v3, v0
	v_ashrrev_i32_e32 v3, 31, v2
	v_max_i32_e32 v2, v2, v4
	v_mul_hi_u32 v1, v2, v1
	v_mul_lo_u32 v4, v1, s3
	v_sub_u32_e32 v2, v2, v4
	v_add_u32_e32 v4, 1, v1
	v_cmp_le_u32_e32 vcc, s3, v2
	v_cndmask_b32_e32 v1, v1, v4, vcc
	v_subrev_u32_e32 v4, s3, v2
	v_cndmask_b32_e32 v2, v2, v4, vcc
	v_add_u32_e32 v4, 1, v1
	v_cmp_le_u32_e32 vcc, s3, v2
	v_xor_b32_e32 v3, s0, v3
	v_cndmask_b32_e32 v1, v1, v4, vcc
	v_xor_b32_e32 v1, v1, v3
	v_sub_u32_e32 v1, v1, v3
	v_cmp_lt_i32_e32 vcc, v0, v1
	s_and_saveexec_b64 s[0:1], vcc
	s_cbranch_execz .LBB16_3
; %bb.1:
	s_load_dwordx4 s[12:15], s[4:5], 0x0
	s_load_dwordx2 s[6:7], s[4:5], 0x10
	s_mov_b64 s[0:1], 0
	s_mov_b32 s2, 0x2aaaaaab
	s_mov_b32 s3, 0x38e38e39
	s_movk_i32 s4, 0x900
	s_waitcnt lgkmcnt(0)
	v_pk_mov_b32 v[2:3], s[6:7], s[6:7] op_sel:[0,1]
	s_movk_i32 s5, 0x60
	s_mov_b32 s6, 0xbfb8aa3b
	s_mov_b32 s7, 0x42ce8ed0
	s_mov_b32 s8, 0xc2b17218
	v_mov_b32_e32 v8, 0x7f800000
	v_pk_mov_b32 v[4:5], s[14:15], s[14:15] op_sel:[0,1]
	v_pk_mov_b32 v[6:7], s[12:13], s[12:13] op_sel:[0,1]
.LBB16_2:                               ; =>This Inner Loop Header: Depth=1
	v_mul_hi_i32 v9, v0, s2
	v_mul_hi_i32 v10, v0, s3
	v_lshrrev_b32_e32 v11, 31, v9
	v_lshrrev_b32_e32 v12, 31, v10
	v_ashrrev_i32_e32 v10, 5, v10
	v_add_u32_e32 v9, v9, v11
	v_add_u32_e32 v14, v10, v12
	v_mad_u64_u32 v[10:11], s[10:11], v9, -6, v[0:1]
	v_mul_hi_i32 v11, v9, s2
	v_mul_hi_i32 v12, v14, s2
	v_lshrrev_b32_e32 v15, 31, v11
	v_lshrrev_b32_e32 v11, 2, v11
	;; [unrolled: 1-line block ×4, first 2 shown]
	v_add_u32_e32 v11, v11, v15
	v_add_u32_e32 v15, v17, v16
	v_mul_lo_u32 v15, v15, 24
	v_mul_lo_u32 v11, v11, 24
	v_sub_u32_e32 v14, v14, v15
	v_mad_i64_i32 v[12:13], s[10:11], v10, s4, v[2:3]
	v_sub_u32_e32 v9, v9, v11
	v_ashrrev_i32_e32 v15, 31, v14
	v_mad_i64_i32 v[12:13], s[10:11], v9, s5, v[12:13]
	v_lshlrev_b64 v[14:15], 2, v[14:15]
	v_add_co_u32_e32 v12, vcc, v12, v14
	v_addc_co_u32_e32 v13, vcc, v13, v15, vcc
	global_load_dword v16, v[12:13], off
	v_mad_i64_i32 v[12:13], s[10:11], v10, s4, v[4:5]
	v_mad_i64_i32 v[12:13], s[10:11], v9, s5, v[12:13]
	v_add_co_u32_e32 v12, vcc, v12, v14
	v_addc_co_u32_e32 v13, vcc, v13, v15, vcc
	global_load_dword v12, v[12:13], off
	v_add_u32_e32 v0, 1, v0
	v_mad_i64_i32 v[10:11], s[10:11], v10, s4, v[6:7]
	v_cmp_ge_i32_e32 vcc, v0, v1
	v_mad_i64_i32 v[10:11], s[10:11], v9, s5, v[10:11]
	s_or_b64 s[0:1], vcc, s[0:1]
	v_add_co_u32_e32 v10, vcc, v10, v14
	v_addc_co_u32_e32 v11, vcc, v11, v15, vcc
	s_waitcnt vmcnt(1)
	v_mul_f32_e32 v9, 0xbfb8aa3b, v16
	v_fma_f32 v13, v16, s6, -v9
	v_rndne_f32_e32 v14, v9
	v_fmac_f32_e32 v13, 0xb2a5705f, v16
	v_sub_f32_e32 v9, v9, v14
	v_add_f32_e32 v9, v9, v13
	v_cvt_i32_f32_e32 v14, v14
	v_exp_f32_e32 v9, v9
	v_cmp_nlt_f32_e32 vcc, s7, v16
	v_ldexp_f32 v9, v9, v14
	v_cndmask_b32_e32 v9, 0, v9, vcc
	v_cmp_ngt_f32_e32 vcc, s8, v16
	v_cndmask_b32_e32 v9, v8, v9, vcc
	v_add_f32_e32 v9, 1.0, v9
	v_div_scale_f32 v13, s[10:11], v9, v9, 1.0
	v_rcp_f32_e32 v14, v13
	v_div_scale_f32 v15, vcc, 1.0, v9, 1.0
	v_fma_f32 v16, -v13, v14, 1.0
	v_fmac_f32_e32 v14, v16, v14
	v_mul_f32_e32 v16, v15, v14
	v_fma_f32 v17, -v13, v16, v15
	v_fmac_f32_e32 v16, v17, v14
	v_fma_f32 v13, -v13, v16, v15
	v_div_fmas_f32 v13, v13, v14, v16
	v_div_fixup_f32 v9, v13, v9, 1.0
	s_waitcnt vmcnt(0)
	v_mul_f32_e32 v12, v12, v9
	v_sub_f32_e32 v9, 1.0, v9
	v_mul_f32_e32 v9, v12, v9
	global_store_dword v[10:11], v9, off
	s_andn2_b64 exec, exec, s[0:1]
	s_cbranch_execnz .LBB16_2
.LBB16_3:
	s_endpgm
	.section	.rodata,"a",@progbits
	.p2align	6, 0x0
	.amdhsa_kernel _Z12bp_preact_c1PA24_A24_fS1_S1_
		.amdhsa_group_segment_fixed_size 0
		.amdhsa_private_segment_fixed_size 0
		.amdhsa_kernarg_size 280
		.amdhsa_user_sgpr_count 6
		.amdhsa_user_sgpr_private_segment_buffer 1
		.amdhsa_user_sgpr_dispatch_ptr 0
		.amdhsa_user_sgpr_queue_ptr 0
		.amdhsa_user_sgpr_kernarg_segment_ptr 1
		.amdhsa_user_sgpr_dispatch_id 0
		.amdhsa_user_sgpr_flat_scratch_init 0
		.amdhsa_user_sgpr_kernarg_preload_length 0
		.amdhsa_user_sgpr_kernarg_preload_offset 0
		.amdhsa_user_sgpr_private_segment_size 0
		.amdhsa_uses_dynamic_stack 0
		.amdhsa_system_sgpr_private_segment_wavefront_offset 0
		.amdhsa_system_sgpr_workgroup_id_x 1
		.amdhsa_system_sgpr_workgroup_id_y 0
		.amdhsa_system_sgpr_workgroup_id_z 0
		.amdhsa_system_sgpr_workgroup_info 0
		.amdhsa_system_vgpr_workitem_id 0
		.amdhsa_next_free_vgpr 18
		.amdhsa_next_free_sgpr 16
		.amdhsa_accum_offset 20
		.amdhsa_reserve_vcc 1
		.amdhsa_reserve_flat_scratch 0
		.amdhsa_float_round_mode_32 0
		.amdhsa_float_round_mode_16_64 0
		.amdhsa_float_denorm_mode_32 3
		.amdhsa_float_denorm_mode_16_64 3
		.amdhsa_dx10_clamp 1
		.amdhsa_ieee_mode 1
		.amdhsa_fp16_overflow 0
		.amdhsa_tg_split 0
		.amdhsa_exception_fp_ieee_invalid_op 0
		.amdhsa_exception_fp_denorm_src 0
		.amdhsa_exception_fp_ieee_div_zero 0
		.amdhsa_exception_fp_ieee_overflow 0
		.amdhsa_exception_fp_ieee_underflow 0
		.amdhsa_exception_fp_ieee_inexact 0
		.amdhsa_exception_int_div_zero 0
	.end_amdhsa_kernel
	.text
.Lfunc_end16:
	.size	_Z12bp_preact_c1PA24_A24_fS1_S1_, .Lfunc_end16-_Z12bp_preact_c1PA24_A24_fS1_S1_
                                        ; -- End function
	.section	.AMDGPU.csdata,"",@progbits
; Kernel info:
; codeLenInByte = 784
; NumSgprs: 20
; NumVgprs: 18
; NumAgprs: 0
; TotalNumVgprs: 18
; ScratchSize: 0
; MemoryBound: 0
; FloatMode: 240
; IeeeMode: 1
; LDSByteSize: 0 bytes/workgroup (compile time only)
; SGPRBlocks: 2
; VGPRBlocks: 2
; NumSGPRsForWavesPerEU: 20
; NumVGPRsForWavesPerEU: 18
; AccumOffset: 20
; Occupancy: 8
; WaveLimiterHint : 0
; COMPUTE_PGM_RSRC2:SCRATCH_EN: 0
; COMPUTE_PGM_RSRC2:USER_SGPR: 6
; COMPUTE_PGM_RSRC2:TRAP_HANDLER: 0
; COMPUTE_PGM_RSRC2:TGID_X_EN: 1
; COMPUTE_PGM_RSRC2:TGID_Y_EN: 0
; COMPUTE_PGM_RSRC2:TGID_Z_EN: 0
; COMPUTE_PGM_RSRC2:TIDIG_COMP_CNT: 0
; COMPUTE_PGM_RSRC3_GFX90A:ACCUM_OFFSET: 4
; COMPUTE_PGM_RSRC3_GFX90A:TG_SPLIT: 0
	.text
	.protected	_Z12bp_weight_c1PA5_A5_fPA24_A24_fPA28_f ; -- Begin function _Z12bp_weight_c1PA5_A5_fPA24_A24_fPA28_f
	.globl	_Z12bp_weight_c1PA5_A5_fPA24_A24_fPA28_f
	.p2align	8
	.type	_Z12bp_weight_c1PA5_A5_fPA24_A24_fPA28_f,@function
_Z12bp_weight_c1PA5_A5_fPA24_A24_fPA28_f: ; @_Z12bp_weight_c1PA5_A5_fPA24_A24_fPA28_f
; %bb.0:
	s_load_dword s0, s[4:5], 0x24
	s_load_dword s1, s[4:5], 0x18
	s_mov_b32 s2, 0x15180
	s_waitcnt lgkmcnt(0)
	s_and_b32 s0, s0, 0xffff
	s_mul_i32 s1, s1, s0
	s_abs_i32 s3, s1
	v_cvt_f32_u32_e32 v1, s3
	s_mul_i32 s6, s6, s0
	v_add_u32_e32 v0, s6, v0
	s_ashr_i32 s0, s1, 31
	v_rcp_iflag_f32_e32 v1, v1
	s_sub_i32 s1, 0, s3
	v_mul_lo_u32 v0, v0, s2
	v_sub_u32_e32 v3, 0, v0
	v_mul_f32_e32 v1, 0x4f7ffffe, v1
	v_cvt_u32_f32_e32 v1, v1
	v_max_i32_e32 v3, v0, v3
	v_ashrrev_i32_e32 v2, 31, v0
	v_xor_b32_e32 v2, s0, v2
	v_mul_lo_u32 v4, s1, v1
	v_mul_hi_u32 v4, v1, v4
	v_add_u32_e32 v1, v1, v4
	v_mul_hi_u32 v4, v3, v1
	v_mul_lo_u32 v5, v4, s3
	v_sub_u32_e32 v3, v3, v5
	v_add_u32_e32 v5, 1, v4
	v_cmp_le_u32_e32 vcc, s3, v3
	v_cndmask_b32_e32 v4, v4, v5, vcc
	v_subrev_u32_e32 v5, s3, v3
	v_cndmask_b32_e32 v3, v3, v5, vcc
	v_add_u32_e32 v5, 1, v4
	v_cmp_le_u32_e32 vcc, s3, v3
	v_cndmask_b32_e32 v3, v4, v5, vcc
	v_xor_b32_e32 v3, v3, v2
	v_add_u32_e32 v0, 0x15180, v0
	v_sub_u32_e32 v10, v3, v2
	v_sub_u32_e32 v3, 0, v0
	v_ashrrev_i32_e32 v2, 31, v0
	v_max_i32_e32 v0, v0, v3
	v_mul_hi_u32 v1, v0, v1
	v_mul_lo_u32 v3, v1, s3
	v_sub_u32_e32 v0, v0, v3
	v_add_u32_e32 v3, 1, v1
	v_cmp_le_u32_e32 vcc, s3, v0
	v_cndmask_b32_e32 v1, v1, v3, vcc
	v_subrev_u32_e32 v3, s3, v0
	v_cndmask_b32_e32 v0, v0, v3, vcc
	v_add_u32_e32 v3, 1, v1
	v_cmp_le_u32_e32 vcc, s3, v0
	v_xor_b32_e32 v2, s0, v2
	v_cndmask_b32_e32 v0, v1, v3, vcc
	v_xor_b32_e32 v0, v0, v2
	v_sub_u32_e32 v11, v0, v2
	v_cmp_lt_i32_e32 vcc, v10, v11
	s_and_saveexec_b64 s[0:1], vcc
	s_cbranch_execz .LBB17_5
; %bb.1:
	s_load_dwordx4 s[12:15], s[4:5], 0x0
	s_load_dwordx2 s[2:3], s[4:5], 0x10
	s_mov_b64 s[0:1], 0
	s_mov_b32 s4, 0x2aaaaaab
	s_mov_b32 s5, 0x66666667
	s_mov_b32 s6, 0x88888889
	s_mov_b32 s7, 0x1b4e81b5
	s_mov_b32 s8, 0x91a2b3c5
	s_movk_i32 s9, 0x64
	s_waitcnt lgkmcnt(0)
	v_pk_mov_b32 v[0:1], s[12:13], s[12:13] op_sel:[0,1]
	s_movk_i32 s10, 0x900
	v_pk_mov_b32 v[2:3], s[14:15], s[14:15] op_sel:[0,1]
	s_movk_i32 s11, 0x60
	s_movk_i32 s12, 0x70
	v_pk_mov_b32 v[4:5], s[2:3], s[2:3] op_sel:[0,1]
	s_mov_b32 s13, 0x44100000
.LBB17_2:                               ; =>This Loop Header: Depth=1
                                        ;     Child Loop BB17_3 Depth 2
	v_mul_hi_i32 v6, v10, s4
	v_lshrrev_b32_e32 v7, 31, v6
	v_add_u32_e32 v6, v6, v7
	v_mul_lo_u32 v7, v6, 6
	v_sub_u32_e32 v16, v10, v7
	v_mul_hi_i32 v7, v6, s5
	v_lshrrev_b32_e32 v8, 31, v7
	v_ashrrev_i32_e32 v7, 1, v7
	v_add_u32_e32 v7, v7, v8
	v_lshl_add_u32 v7, v7, 2, v7
	v_sub_u32_e32 v17, v6, v7
	v_mul_hi_i32 v6, v10, s6
	v_add_u32_e32 v6, v6, v10
	v_lshrrev_b32_e32 v7, 31, v6
	v_ashrrev_i32_e32 v6, 4, v6
	v_add_u32_e32 v6, v6, v7
	v_mul_hi_i32 v7, v6, s5
	v_lshrrev_b32_e32 v8, 31, v7
	v_ashrrev_i32_e32 v7, 1, v7
	v_add_u32_e32 v7, v7, v8
	v_lshl_add_u32 v7, v7, 2, v7
	v_sub_u32_e32 v6, v6, v7
	v_mul_hi_i32 v7, v10, s7
	v_lshrrev_b32_e32 v8, 31, v7
	v_ashrrev_i32_e32 v7, 4, v7
	v_add_u32_e32 v7, v7, v8
	v_mul_hi_i32 v8, v7, s4
	v_lshrrev_b32_e32 v9, 31, v8
	v_lshrrev_b32_e32 v8, 2, v8
	v_add_u32_e32 v8, v8, v9
	v_mul_lo_u32 v8, v8, 24
	v_sub_u32_e32 v7, v7, v8
	v_mul_hi_i32 v8, v10, s8
	v_add_u32_e32 v8, v8, v10
	v_lshrrev_b32_e32 v9, 31, v8
	v_ashrrev_i32_e32 v8, 11, v8
	v_add_u32_e32 v8, v8, v9
	v_mul_hi_i32 v9, v8, s4
	v_lshrrev_b32_e32 v12, 31, v9
	v_lshrrev_b32_e32 v9, 2, v9
	v_add_u32_e32 v9, v9, v12
	v_mul_lo_u32 v9, v9, 24
	v_sub_u32_e32 v8, v8, v9
	v_ashrrev_i32_e32 v9, 31, v8
	v_mad_i64_i32 v[14:15], s[2:3], v16, s10, v[2:3]
	v_lshlrev_b64 v[12:13], 2, v[8:9]
	v_mad_i64_i32 v[14:15], s[2:3], v7, s11, v[14:15]
	v_add_co_u32_e32 v12, vcc, v14, v12
	v_add_u32_e32 v8, v8, v6
	v_addc_co_u32_e32 v13, vcc, v15, v13, vcc
	v_add_u32_e32 v7, v7, v17
	v_ashrrev_i32_e32 v9, 31, v8
	global_load_dword v14, v[12:13], off
	v_lshlrev_b64 v[8:9], 2, v[8:9]
	v_mad_i64_i32 v[12:13], s[2:3], v7, s12, v[4:5]
	v_add_co_u32_e32 v8, vcc, v12, v8
	v_addc_co_u32_e32 v9, vcc, v13, v9, vcc
	global_load_dword v12, v[8:9], off
	v_ashrrev_i32_e32 v7, 31, v6
	v_mad_i64_i32 v[8:9], s[2:3], v16, s9, v[0:1]
	v_lshlrev_b64 v[6:7], 2, v[6:7]
	v_mad_i64_i32 v[8:9], s[2:3], v17, 20, v[8:9]
	v_add_co_u32_e32 v6, vcc, v8, v6
	v_addc_co_u32_e32 v7, vcc, v9, v7, vcc
	global_load_dword v9, v[6:7], off
	s_waitcnt vmcnt(1)
	v_mul_f32_e32 v8, v14, v12
	v_div_scale_f32 v12, s[2:3], s13, s13, v8
	v_rcp_f32_e32 v13, v12
	v_div_scale_f32 v14, vcc, v8, s13, v8
	s_mov_b64 s[2:3], 0
	v_fma_f32 v15, -v12, v13, 1.0
	v_fmac_f32_e32 v13, v15, v13
	v_mul_f32_e32 v15, v14, v13
	v_fma_f32 v16, -v12, v15, v14
	v_fmac_f32_e32 v15, v16, v13
	v_fma_f32 v12, -v12, v15, v14
	v_div_fmas_f32 v12, v12, v13, v15
	v_div_fixup_f32 v12, v12, s13, v8
.LBB17_3:                               ;   Parent Loop BB17_2 Depth=1
                                        ; =>  This Inner Loop Header: Depth=2
	s_waitcnt vmcnt(0)
	v_add_f32_e32 v8, v9, v12
	global_atomic_cmpswap v8, v[6:7], v[8:9], off glc
	s_waitcnt vmcnt(0)
	v_cmp_eq_u32_e32 vcc, v8, v9
	s_or_b64 s[2:3], vcc, s[2:3]
	v_mov_b32_e32 v9, v8
	s_andn2_b64 exec, exec, s[2:3]
	s_cbranch_execnz .LBB17_3
; %bb.4:                                ;   in Loop: Header=BB17_2 Depth=1
	s_or_b64 exec, exec, s[2:3]
	v_add_u32_e32 v10, 1, v10
	v_cmp_ge_i32_e32 vcc, v10, v11
	s_or_b64 s[0:1], vcc, s[0:1]
	s_andn2_b64 exec, exec, s[0:1]
	s_cbranch_execnz .LBB17_2
.LBB17_5:
	s_endpgm
	.section	.rodata,"a",@progbits
	.p2align	6, 0x0
	.amdhsa_kernel _Z12bp_weight_c1PA5_A5_fPA24_A24_fPA28_f
		.amdhsa_group_segment_fixed_size 0
		.amdhsa_private_segment_fixed_size 0
		.amdhsa_kernarg_size 280
		.amdhsa_user_sgpr_count 6
		.amdhsa_user_sgpr_private_segment_buffer 1
		.amdhsa_user_sgpr_dispatch_ptr 0
		.amdhsa_user_sgpr_queue_ptr 0
		.amdhsa_user_sgpr_kernarg_segment_ptr 1
		.amdhsa_user_sgpr_dispatch_id 0
		.amdhsa_user_sgpr_flat_scratch_init 0
		.amdhsa_user_sgpr_kernarg_preload_length 0
		.amdhsa_user_sgpr_kernarg_preload_offset 0
		.amdhsa_user_sgpr_private_segment_size 0
		.amdhsa_uses_dynamic_stack 0
		.amdhsa_system_sgpr_private_segment_wavefront_offset 0
		.amdhsa_system_sgpr_workgroup_id_x 1
		.amdhsa_system_sgpr_workgroup_id_y 0
		.amdhsa_system_sgpr_workgroup_id_z 0
		.amdhsa_system_sgpr_workgroup_info 0
		.amdhsa_system_vgpr_workitem_id 0
		.amdhsa_next_free_vgpr 18
		.amdhsa_next_free_sgpr 16
		.amdhsa_accum_offset 20
		.amdhsa_reserve_vcc 1
		.amdhsa_reserve_flat_scratch 0
		.amdhsa_float_round_mode_32 0
		.amdhsa_float_round_mode_16_64 0
		.amdhsa_float_denorm_mode_32 3
		.amdhsa_float_denorm_mode_16_64 3
		.amdhsa_dx10_clamp 1
		.amdhsa_ieee_mode 1
		.amdhsa_fp16_overflow 0
		.amdhsa_tg_split 0
		.amdhsa_exception_fp_ieee_invalid_op 0
		.amdhsa_exception_fp_denorm_src 0
		.amdhsa_exception_fp_ieee_div_zero 0
		.amdhsa_exception_fp_ieee_overflow 0
		.amdhsa_exception_fp_ieee_underflow 0
		.amdhsa_exception_fp_ieee_inexact 0
		.amdhsa_exception_int_div_zero 0
	.end_amdhsa_kernel
	.text
.Lfunc_end17:
	.size	_Z12bp_weight_c1PA5_A5_fPA24_A24_fPA28_f, .Lfunc_end17-_Z12bp_weight_c1PA5_A5_fPA24_A24_fPA28_f
                                        ; -- End function
	.section	.AMDGPU.csdata,"",@progbits
; Kernel info:
; codeLenInByte = 900
; NumSgprs: 20
; NumVgprs: 18
; NumAgprs: 0
; TotalNumVgprs: 18
; ScratchSize: 0
; MemoryBound: 0
; FloatMode: 240
; IeeeMode: 1
; LDSByteSize: 0 bytes/workgroup (compile time only)
; SGPRBlocks: 2
; VGPRBlocks: 2
; NumSGPRsForWavesPerEU: 20
; NumVGPRsForWavesPerEU: 18
; AccumOffset: 20
; Occupancy: 8
; WaveLimiterHint : 0
; COMPUTE_PGM_RSRC2:SCRATCH_EN: 0
; COMPUTE_PGM_RSRC2:USER_SGPR: 6
; COMPUTE_PGM_RSRC2:TRAP_HANDLER: 0
; COMPUTE_PGM_RSRC2:TGID_X_EN: 1
; COMPUTE_PGM_RSRC2:TGID_Y_EN: 0
; COMPUTE_PGM_RSRC2:TGID_Z_EN: 0
; COMPUTE_PGM_RSRC2:TIDIG_COMP_CNT: 0
; COMPUTE_PGM_RSRC3_GFX90A:ACCUM_OFFSET: 4
; COMPUTE_PGM_RSRC3_GFX90A:TG_SPLIT: 0
	.text
	.protected	_Z10bp_bias_c1PfPA24_A24_f ; -- Begin function _Z10bp_bias_c1PfPA24_A24_f
	.globl	_Z10bp_bias_c1PfPA24_A24_f
	.p2align	8
	.type	_Z10bp_bias_c1PfPA24_A24_f,@function
_Z10bp_bias_c1PfPA24_A24_f:             ; @_Z10bp_bias_c1PfPA24_A24_f
; %bb.0:
	s_load_dword s0, s[4:5], 0x1c
	s_load_dword s1, s[4:5], 0x10
	s_movk_i32 s2, 0xd80
	s_waitcnt lgkmcnt(0)
	s_and_b32 s0, s0, 0xffff
	s_mul_i32 s1, s1, s0
	s_abs_i32 s3, s1
	v_cvt_f32_u32_e32 v1, s3
	s_mul_i32 s6, s6, s0
	v_add_u32_e32 v0, s6, v0
	s_ashr_i32 s0, s1, 31
	v_rcp_iflag_f32_e32 v1, v1
	s_sub_i32 s1, 0, s3
	v_mul_lo_u32 v0, v0, s2
	v_sub_u32_e32 v3, 0, v0
	v_mul_f32_e32 v1, 0x4f7ffffe, v1
	v_cvt_u32_f32_e32 v1, v1
	v_max_i32_e32 v3, v0, v3
	v_ashrrev_i32_e32 v2, 31, v0
	v_xor_b32_e32 v2, s0, v2
	v_mul_lo_u32 v4, s1, v1
	v_mul_hi_u32 v4, v1, v4
	v_add_u32_e32 v1, v1, v4
	v_mul_hi_u32 v4, v3, v1
	v_mul_lo_u32 v5, v4, s3
	v_sub_u32_e32 v3, v3, v5
	v_add_u32_e32 v5, 1, v4
	v_cmp_le_u32_e32 vcc, s3, v3
	v_cndmask_b32_e32 v4, v4, v5, vcc
	v_subrev_u32_e32 v5, s3, v3
	v_cndmask_b32_e32 v3, v3, v5, vcc
	v_add_u32_e32 v5, 1, v4
	v_cmp_le_u32_e32 vcc, s3, v3
	v_cndmask_b32_e32 v3, v4, v5, vcc
	v_xor_b32_e32 v3, v3, v2
	v_add_u32_e32 v0, 0xd80, v0
	v_sub_u32_e32 v6, v3, v2
	v_sub_u32_e32 v3, 0, v0
	v_ashrrev_i32_e32 v2, 31, v0
	v_max_i32_e32 v0, v0, v3
	v_mul_hi_u32 v1, v0, v1
	v_mul_lo_u32 v3, v1, s3
	v_sub_u32_e32 v0, v0, v3
	v_add_u32_e32 v3, 1, v1
	v_cmp_le_u32_e32 vcc, s3, v0
	v_cndmask_b32_e32 v1, v1, v3, vcc
	v_subrev_u32_e32 v3, s3, v0
	v_cndmask_b32_e32 v0, v0, v3, vcc
	v_add_u32_e32 v3, 1, v1
	v_cmp_le_u32_e32 vcc, s3, v0
	v_xor_b32_e32 v2, s0, v2
	v_cndmask_b32_e32 v0, v1, v3, vcc
	v_xor_b32_e32 v0, v0, v2
	v_sub_u32_e32 v7, v0, v2
	v_cmp_lt_i32_e32 vcc, v6, v7
	s_and_saveexec_b64 s[0:1], vcc
	s_cbranch_execz .LBB18_5
; %bb.1:
	s_load_dwordx4 s[0:3], s[4:5], 0x0
	s_mov_b64 s[4:5], 0
	s_mov_b32 s6, 0x2aaaaaab
	s_mov_b32 s7, 0x38e38e39
	s_movk_i32 s8, 0x900
	s_waitcnt lgkmcnt(0)
	v_mov_b32_e32 v8, s1
	v_pk_mov_b32 v[0:1], s[2:3], s[2:3] op_sel:[0,1]
	s_movk_i32 s1, 0x60
	s_mov_b32 s9, 0x44100000
.LBB18_2:                               ; =>This Loop Header: Depth=1
                                        ;     Child Loop BB18_3 Depth 2
	v_mul_hi_i32 v2, v6, s6
	v_lshrrev_b32_e32 v3, 31, v2
	v_add_u32_e32 v3, v2, v3
	v_mul_hi_i32 v4, v3, s6
	v_lshrrev_b32_e32 v5, 31, v4
	v_lshrrev_b32_e32 v4, 2, v4
	v_add_u32_e32 v4, v4, v5
	v_mul_lo_u32 v4, v4, 24
	v_mul_lo_u32 v2, v3, 6
	v_sub_u32_e32 v3, v3, v4
	v_mul_hi_i32 v4, v6, s7
	v_lshrrev_b32_e32 v5, 31, v4
	v_ashrrev_i32_e32 v4, 5, v4
	v_add_u32_e32 v4, v4, v5
	v_mul_hi_i32 v5, v4, s6
	v_lshrrev_b32_e32 v9, 31, v5
	v_lshrrev_b32_e32 v5, 2, v5
	v_add_u32_e32 v5, v5, v9
	v_mul_lo_u32 v5, v5, 24
	v_sub_u32_e32 v2, v6, v2
	v_sub_u32_e32 v4, v4, v5
	v_ashrrev_i32_e32 v5, 31, v4
	v_mad_i64_i32 v[10:11], s[2:3], v2, s8, v[0:1]
	v_lshlrev_b64 v[4:5], 2, v[4:5]
	v_mad_i64_i32 v[10:11], s[2:3], v3, s1, v[10:11]
	v_add_co_u32_e32 v4, vcc, v10, v4
	v_addc_co_u32_e32 v5, vcc, v11, v5, vcc
	global_load_dword v4, v[4:5], off
	v_ashrrev_i32_e32 v3, 31, v2
	v_lshlrev_b64 v[2:3], 2, v[2:3]
	v_add_co_u32_e32 v2, vcc, s0, v2
	v_addc_co_u32_e32 v3, vcc, v8, v3, vcc
	global_load_dword v5, v[2:3], off
	s_waitcnt vmcnt(1)
	v_mul_f32_e32 v4, 0x3dcccccd, v4
	v_div_scale_f32 v9, s[2:3], s9, s9, v4
	v_rcp_f32_e32 v10, v9
	v_div_scale_f32 v11, vcc, v4, s9, v4
	s_mov_b64 s[2:3], 0
	v_fma_f32 v12, -v9, v10, 1.0
	v_fmac_f32_e32 v10, v12, v10
	v_mul_f32_e32 v12, v11, v10
	v_fma_f32 v13, -v9, v12, v11
	v_fmac_f32_e32 v12, v13, v10
	v_fma_f32 v9, -v9, v12, v11
	v_div_fmas_f32 v9, v9, v10, v12
	v_div_fixup_f32 v9, v9, s9, v4
.LBB18_3:                               ;   Parent Loop BB18_2 Depth=1
                                        ; =>  This Inner Loop Header: Depth=2
	s_waitcnt vmcnt(0)
	v_add_f32_e32 v4, v5, v9
	global_atomic_cmpswap v4, v[2:3], v[4:5], off glc
	s_waitcnt vmcnt(0)
	v_cmp_eq_u32_e32 vcc, v4, v5
	s_or_b64 s[2:3], vcc, s[2:3]
	v_mov_b32_e32 v5, v4
	s_andn2_b64 exec, exec, s[2:3]
	s_cbranch_execnz .LBB18_3
; %bb.4:                                ;   in Loop: Header=BB18_2 Depth=1
	s_or_b64 exec, exec, s[2:3]
	v_add_u32_e32 v6, 1, v6
	v_cmp_ge_i32_e32 vcc, v6, v7
	s_or_b64 s[4:5], vcc, s[4:5]
	s_andn2_b64 exec, exec, s[4:5]
	s_cbranch_execnz .LBB18_2
.LBB18_5:
	s_endpgm
	.section	.rodata,"a",@progbits
	.p2align	6, 0x0
	.amdhsa_kernel _Z10bp_bias_c1PfPA24_A24_f
		.amdhsa_group_segment_fixed_size 0
		.amdhsa_private_segment_fixed_size 0
		.amdhsa_kernarg_size 272
		.amdhsa_user_sgpr_count 6
		.amdhsa_user_sgpr_private_segment_buffer 1
		.amdhsa_user_sgpr_dispatch_ptr 0
		.amdhsa_user_sgpr_queue_ptr 0
		.amdhsa_user_sgpr_kernarg_segment_ptr 1
		.amdhsa_user_sgpr_dispatch_id 0
		.amdhsa_user_sgpr_flat_scratch_init 0
		.amdhsa_user_sgpr_kernarg_preload_length 0
		.amdhsa_user_sgpr_kernarg_preload_offset 0
		.amdhsa_user_sgpr_private_segment_size 0
		.amdhsa_uses_dynamic_stack 0
		.amdhsa_system_sgpr_private_segment_wavefront_offset 0
		.amdhsa_system_sgpr_workgroup_id_x 1
		.amdhsa_system_sgpr_workgroup_id_y 0
		.amdhsa_system_sgpr_workgroup_id_z 0
		.amdhsa_system_sgpr_workgroup_info 0
		.amdhsa_system_vgpr_workitem_id 0
		.amdhsa_next_free_vgpr 14
		.amdhsa_next_free_sgpr 10
		.amdhsa_accum_offset 16
		.amdhsa_reserve_vcc 1
		.amdhsa_reserve_flat_scratch 0
		.amdhsa_float_round_mode_32 0
		.amdhsa_float_round_mode_16_64 0
		.amdhsa_float_denorm_mode_32 3
		.amdhsa_float_denorm_mode_16_64 3
		.amdhsa_dx10_clamp 1
		.amdhsa_ieee_mode 1
		.amdhsa_fp16_overflow 0
		.amdhsa_tg_split 0
		.amdhsa_exception_fp_ieee_invalid_op 0
		.amdhsa_exception_fp_denorm_src 0
		.amdhsa_exception_fp_ieee_div_zero 0
		.amdhsa_exception_fp_ieee_overflow 0
		.amdhsa_exception_fp_ieee_underflow 0
		.amdhsa_exception_fp_ieee_inexact 0
		.amdhsa_exception_int_div_zero 0
	.end_amdhsa_kernel
	.text
.Lfunc_end18:
	.size	_Z10bp_bias_c1PfPA24_A24_f, .Lfunc_end18-_Z10bp_bias_c1PfPA24_A24_f
                                        ; -- End function
	.section	.AMDGPU.csdata,"",@progbits
; Kernel info:
; codeLenInByte = 676
; NumSgprs: 14
; NumVgprs: 14
; NumAgprs: 0
; TotalNumVgprs: 14
; ScratchSize: 0
; MemoryBound: 0
; FloatMode: 240
; IeeeMode: 1
; LDSByteSize: 0 bytes/workgroup (compile time only)
; SGPRBlocks: 1
; VGPRBlocks: 1
; NumSGPRsForWavesPerEU: 14
; NumVGPRsForWavesPerEU: 14
; AccumOffset: 16
; Occupancy: 8
; WaveLimiterHint : 0
; COMPUTE_PGM_RSRC2:SCRATCH_EN: 0
; COMPUTE_PGM_RSRC2:USER_SGPR: 6
; COMPUTE_PGM_RSRC2:TRAP_HANDLER: 0
; COMPUTE_PGM_RSRC2:TGID_X_EN: 1
; COMPUTE_PGM_RSRC2:TGID_Y_EN: 0
; COMPUTE_PGM_RSRC2:TGID_Z_EN: 0
; COMPUTE_PGM_RSRC2:TIDIG_COMP_CNT: 0
; COMPUTE_PGM_RSRC3_GFX90A:ACCUM_OFFSET: 3
; COMPUTE_PGM_RSRC3_GFX90A:TG_SPLIT: 0
	.text
	.p2alignl 6, 3212836864
	.fill 256, 4, 3212836864
	.type	__hip_cuid_c82f62f1322f3cfb,@object ; @__hip_cuid_c82f62f1322f3cfb
	.section	.bss,"aw",@nobits
	.globl	__hip_cuid_c82f62f1322f3cfb
__hip_cuid_c82f62f1322f3cfb:
	.byte	0                               ; 0x0
	.size	__hip_cuid_c82f62f1322f3cfb, 1

	.ident	"AMD clang version 19.0.0git (https://github.com/RadeonOpenCompute/llvm-project roc-6.4.0 25133 c7fe45cf4b819c5991fe208aaa96edf142730f1d)"
	.section	".note.GNU-stack","",@progbits
	.addrsig
	.addrsig_sym __hip_cuid_c82f62f1322f3cfb
	.amdgpu_metadata
---
amdhsa.kernels:
  - .agpr_count:     0
    .args:
      - .address_space:  global
        .offset:         0
        .size:           8
        .value_kind:     global_buffer
      - .address_space:  global
        .offset:         8
        .size:           8
        .value_kind:     global_buffer
      - .offset:         16
        .size:           4
        .value_kind:     by_value
      - .offset:         24
        .size:           4
        .value_kind:     hidden_block_count_x
      - .offset:         28
        .size:           4
        .value_kind:     hidden_block_count_y
      - .offset:         32
        .size:           4
        .value_kind:     hidden_block_count_z
      - .offset:         36
        .size:           2
        .value_kind:     hidden_group_size_x
      - .offset:         38
        .size:           2
        .value_kind:     hidden_group_size_y
      - .offset:         40
        .size:           2
        .value_kind:     hidden_group_size_z
      - .offset:         42
        .size:           2
        .value_kind:     hidden_remainder_x
      - .offset:         44
        .size:           2
        .value_kind:     hidden_remainder_y
      - .offset:         46
        .size:           2
        .value_kind:     hidden_remainder_z
      - .offset:         64
        .size:           8
        .value_kind:     hidden_global_offset_x
      - .offset:         72
        .size:           8
        .value_kind:     hidden_global_offset_y
      - .offset:         80
        .size:           8
        .value_kind:     hidden_global_offset_z
      - .offset:         88
        .size:           2
        .value_kind:     hidden_grid_dims
    .group_segment_fixed_size: 0
    .kernarg_segment_align: 8
    .kernarg_segment_size: 280
    .language:       OpenCL C
    .language_version:
      - 2
      - 0
    .max_flat_workgroup_size: 1024
    .name:           _Z19apply_step_functionPfS_i
    .private_segment_fixed_size: 0
    .sgpr_count:     12
    .sgpr_spill_count: 0
    .symbol:         _Z19apply_step_functionPfS_i.kd
    .uniform_work_group_size: 1
    .uses_dynamic_stack: false
    .vgpr_count:     13
    .vgpr_spill_count: 0
    .wavefront_size: 64
  - .agpr_count:     0
    .args:
      - .address_space:  global
        .offset:         0
        .size:           8
        .value_kind:     global_buffer
      - .address_space:  global
        .offset:         8
        .size:           8
        .value_kind:     global_buffer
      - .offset:         16
        .size:           4
        .value_kind:     by_value
      - .offset:         20
        .size:           4
        .value_kind:     by_value
      - .offset:         24
        .size:           4
        .value_kind:     hidden_block_count_x
      - .offset:         28
        .size:           4
        .value_kind:     hidden_block_count_y
      - .offset:         32
        .size:           4
        .value_kind:     hidden_block_count_z
      - .offset:         36
        .size:           2
        .value_kind:     hidden_group_size_x
      - .offset:         38
        .size:           2
        .value_kind:     hidden_group_size_y
      - .offset:         40
        .size:           2
        .value_kind:     hidden_group_size_z
      - .offset:         42
        .size:           2
        .value_kind:     hidden_remainder_x
      - .offset:         44
        .size:           2
        .value_kind:     hidden_remainder_y
      - .offset:         46
        .size:           2
        .value_kind:     hidden_remainder_z
      - .offset:         64
        .size:           8
        .value_kind:     hidden_global_offset_x
      - .offset:         72
        .size:           8
        .value_kind:     hidden_global_offset_y
      - .offset:         80
        .size:           8
        .value_kind:     hidden_global_offset_z
      - .offset:         88
        .size:           2
        .value_kind:     hidden_grid_dims
    .group_segment_fixed_size: 0
    .kernarg_segment_align: 8
    .kernarg_segment_size: 280
    .language:       OpenCL C
    .language_version:
      - 2
      - 0
    .max_flat_workgroup_size: 1024
    .name:           _Z9makeErrorPfS_ji
    .private_segment_fixed_size: 0
    .sgpr_count:     12
    .sgpr_spill_count: 0
    .symbol:         _Z9makeErrorPfS_ji.kd
    .uniform_work_group_size: 1
    .uses_dynamic_stack: false
    .vgpr_count:     8
    .vgpr_spill_count: 0
    .wavefront_size: 64
  - .agpr_count:     0
    .args:
      - .address_space:  global
        .offset:         0
        .size:           8
        .value_kind:     global_buffer
      - .address_space:  global
        .offset:         8
        .size:           8
        .value_kind:     global_buffer
      - .offset:         16
        .size:           4
        .value_kind:     by_value
      - .offset:         24
        .size:           4
        .value_kind:     hidden_block_count_x
      - .offset:         28
        .size:           4
        .value_kind:     hidden_block_count_y
      - .offset:         32
        .size:           4
        .value_kind:     hidden_block_count_z
      - .offset:         36
        .size:           2
        .value_kind:     hidden_group_size_x
      - .offset:         38
        .size:           2
        .value_kind:     hidden_group_size_y
      - .offset:         40
        .size:           2
        .value_kind:     hidden_group_size_z
      - .offset:         42
        .size:           2
        .value_kind:     hidden_remainder_x
      - .offset:         44
        .size:           2
        .value_kind:     hidden_remainder_y
      - .offset:         46
        .size:           2
        .value_kind:     hidden_remainder_z
      - .offset:         64
        .size:           8
        .value_kind:     hidden_global_offset_x
      - .offset:         72
        .size:           8
        .value_kind:     hidden_global_offset_y
      - .offset:         80
        .size:           8
        .value_kind:     hidden_global_offset_z
      - .offset:         88
        .size:           2
        .value_kind:     hidden_grid_dims
    .group_segment_fixed_size: 0
    .kernarg_segment_align: 8
    .kernarg_segment_size: 280
    .language:       OpenCL C
    .language_version:
      - 2
      - 0
    .max_flat_workgroup_size: 1024
    .name:           _Z10apply_gradPfS_i
    .private_segment_fixed_size: 0
    .sgpr_count:     11
    .sgpr_spill_count: 0
    .symbol:         _Z10apply_gradPfS_i.kd
    .uniform_work_group_size: 1
    .uses_dynamic_stack: false
    .vgpr_count:     8
    .vgpr_spill_count: 0
    .wavefront_size: 64
  - .agpr_count:     0
    .args:
      - .address_space:  global
        .offset:         0
        .size:           8
        .value_kind:     global_buffer
      - .address_space:  global
        .offset:         8
        .size:           8
        .value_kind:     global_buffer
      - .address_space:  global
        .offset:         16
        .size:           8
        .value_kind:     global_buffer
      - .offset:         24
        .size:           4
        .value_kind:     hidden_block_count_x
      - .offset:         28
        .size:           4
        .value_kind:     hidden_block_count_y
      - .offset:         32
        .size:           4
        .value_kind:     hidden_block_count_z
      - .offset:         36
        .size:           2
        .value_kind:     hidden_group_size_x
      - .offset:         38
        .size:           2
        .value_kind:     hidden_group_size_y
      - .offset:         40
        .size:           2
        .value_kind:     hidden_group_size_z
      - .offset:         42
        .size:           2
        .value_kind:     hidden_remainder_x
      - .offset:         44
        .size:           2
        .value_kind:     hidden_remainder_y
      - .offset:         46
        .size:           2
        .value_kind:     hidden_remainder_z
      - .offset:         64
        .size:           8
        .value_kind:     hidden_global_offset_x
      - .offset:         72
        .size:           8
        .value_kind:     hidden_global_offset_y
      - .offset:         80
        .size:           8
        .value_kind:     hidden_global_offset_z
      - .offset:         88
        .size:           2
        .value_kind:     hidden_grid_dims
    .group_segment_fixed_size: 0
    .kernarg_segment_align: 8
    .kernarg_segment_size: 280
    .language:       OpenCL C
    .language_version:
      - 2
      - 0
    .max_flat_workgroup_size: 1024
    .name:           _Z12fp_preact_c1PA28_fPA24_A24_fPA5_A5_f
    .private_segment_fixed_size: 0
    .sgpr_count:     24
    .sgpr_spill_count: 0
    .symbol:         _Z12fp_preact_c1PA28_fPA24_A24_fPA5_A5_f.kd
    .uniform_work_group_size: 1
    .uses_dynamic_stack: false
    .vgpr_count:     22
    .vgpr_spill_count: 0
    .wavefront_size: 64
  - .agpr_count:     0
    .args:
      - .address_space:  global
        .offset:         0
        .size:           8
        .value_kind:     global_buffer
      - .address_space:  global
        .offset:         8
        .size:           8
        .value_kind:     global_buffer
      - .offset:         16
        .size:           4
        .value_kind:     hidden_block_count_x
      - .offset:         20
        .size:           4
        .value_kind:     hidden_block_count_y
      - .offset:         24
        .size:           4
        .value_kind:     hidden_block_count_z
      - .offset:         28
        .size:           2
        .value_kind:     hidden_group_size_x
      - .offset:         30
        .size:           2
        .value_kind:     hidden_group_size_y
      - .offset:         32
        .size:           2
        .value_kind:     hidden_group_size_z
      - .offset:         34
        .size:           2
        .value_kind:     hidden_remainder_x
      - .offset:         36
        .size:           2
        .value_kind:     hidden_remainder_y
      - .offset:         38
        .size:           2
        .value_kind:     hidden_remainder_z
      - .offset:         56
        .size:           8
        .value_kind:     hidden_global_offset_x
      - .offset:         64
        .size:           8
        .value_kind:     hidden_global_offset_y
      - .offset:         72
        .size:           8
        .value_kind:     hidden_global_offset_z
      - .offset:         80
        .size:           2
        .value_kind:     hidden_grid_dims
    .group_segment_fixed_size: 0
    .kernarg_segment_align: 8
    .kernarg_segment_size: 272
    .language:       OpenCL C
    .language_version:
      - 2
      - 0
    .max_flat_workgroup_size: 1024
    .name:           _Z10fp_bias_c1PA24_A24_fPf
    .private_segment_fixed_size: 0
    .sgpr_count:     16
    .sgpr_spill_count: 0
    .symbol:         _Z10fp_bias_c1PA24_A24_fPf.kd
    .uniform_work_group_size: 1
    .uses_dynamic_stack: false
    .vgpr_count:     15
    .vgpr_spill_count: 0
    .wavefront_size: 64
  - .agpr_count:     0
    .args:
      - .address_space:  global
        .offset:         0
        .size:           8
        .value_kind:     global_buffer
      - .address_space:  global
        .offset:         8
        .size:           8
        .value_kind:     global_buffer
      - .address_space:  global
        .offset:         16
        .size:           8
        .value_kind:     global_buffer
      - .offset:         24
        .size:           4
        .value_kind:     hidden_block_count_x
      - .offset:         28
        .size:           4
        .value_kind:     hidden_block_count_y
      - .offset:         32
        .size:           4
        .value_kind:     hidden_block_count_z
      - .offset:         36
        .size:           2
        .value_kind:     hidden_group_size_x
      - .offset:         38
        .size:           2
        .value_kind:     hidden_group_size_y
      - .offset:         40
        .size:           2
        .value_kind:     hidden_group_size_z
      - .offset:         42
        .size:           2
        .value_kind:     hidden_remainder_x
      - .offset:         44
        .size:           2
        .value_kind:     hidden_remainder_y
      - .offset:         46
        .size:           2
        .value_kind:     hidden_remainder_z
      - .offset:         64
        .size:           8
        .value_kind:     hidden_global_offset_x
      - .offset:         72
        .size:           8
        .value_kind:     hidden_global_offset_y
      - .offset:         80
        .size:           8
        .value_kind:     hidden_global_offset_z
      - .offset:         88
        .size:           2
        .value_kind:     hidden_grid_dims
    .group_segment_fixed_size: 0
    .kernarg_segment_align: 8
    .kernarg_segment_size: 280
    .language:       OpenCL C
    .language_version:
      - 2
      - 0
    .max_flat_workgroup_size: 1024
    .name:           _Z12fp_preact_s1PA24_A24_fPA6_A6_fPA4_A4_f
    .private_segment_fixed_size: 0
    .sgpr_count:     20
    .sgpr_spill_count: 0
    .symbol:         _Z12fp_preact_s1PA24_A24_fPA6_A6_fPA4_A4_f.kd
    .uniform_work_group_size: 1
    .uses_dynamic_stack: false
    .vgpr_count:     23
    .vgpr_spill_count: 0
    .wavefront_size: 64
  - .agpr_count:     0
    .args:
      - .address_space:  global
        .offset:         0
        .size:           8
        .value_kind:     global_buffer
      - .address_space:  global
        .offset:         8
        .size:           8
        .value_kind:     global_buffer
      - .offset:         16
        .size:           4
        .value_kind:     hidden_block_count_x
      - .offset:         20
        .size:           4
        .value_kind:     hidden_block_count_y
      - .offset:         24
        .size:           4
        .value_kind:     hidden_block_count_z
      - .offset:         28
        .size:           2
        .value_kind:     hidden_group_size_x
      - .offset:         30
        .size:           2
        .value_kind:     hidden_group_size_y
      - .offset:         32
        .size:           2
        .value_kind:     hidden_group_size_z
      - .offset:         34
        .size:           2
        .value_kind:     hidden_remainder_x
      - .offset:         36
        .size:           2
        .value_kind:     hidden_remainder_y
      - .offset:         38
        .size:           2
        .value_kind:     hidden_remainder_z
      - .offset:         56
        .size:           8
        .value_kind:     hidden_global_offset_x
      - .offset:         64
        .size:           8
        .value_kind:     hidden_global_offset_y
      - .offset:         72
        .size:           8
        .value_kind:     hidden_global_offset_z
      - .offset:         80
        .size:           2
        .value_kind:     hidden_grid_dims
    .group_segment_fixed_size: 0
    .kernarg_segment_align: 8
    .kernarg_segment_size: 272
    .language:       OpenCL C
    .language_version:
      - 2
      - 0
    .max_flat_workgroup_size: 1024
    .name:           _Z10fp_bias_s1PA6_A6_fPf
    .private_segment_fixed_size: 0
    .sgpr_count:     13
    .sgpr_spill_count: 0
    .symbol:         _Z10fp_bias_s1PA6_A6_fPf.kd
    .uniform_work_group_size: 1
    .uses_dynamic_stack: false
    .vgpr_count:     14
    .vgpr_spill_count: 0
    .wavefront_size: 64
  - .agpr_count:     0
    .args:
      - .address_space:  global
        .offset:         0
        .size:           8
        .value_kind:     global_buffer
      - .address_space:  global
        .offset:         8
        .size:           8
        .value_kind:     global_buffer
      - .address_space:  global
        .offset:         16
        .size:           8
        .value_kind:     global_buffer
      - .offset:         24
        .size:           4
        .value_kind:     hidden_block_count_x
      - .offset:         28
        .size:           4
        .value_kind:     hidden_block_count_y
      - .offset:         32
        .size:           4
        .value_kind:     hidden_block_count_z
      - .offset:         36
        .size:           2
        .value_kind:     hidden_group_size_x
      - .offset:         38
        .size:           2
        .value_kind:     hidden_group_size_y
      - .offset:         40
        .size:           2
        .value_kind:     hidden_group_size_z
      - .offset:         42
        .size:           2
        .value_kind:     hidden_remainder_x
      - .offset:         44
        .size:           2
        .value_kind:     hidden_remainder_y
      - .offset:         46
        .size:           2
        .value_kind:     hidden_remainder_z
      - .offset:         64
        .size:           8
        .value_kind:     hidden_global_offset_x
      - .offset:         72
        .size:           8
        .value_kind:     hidden_global_offset_y
      - .offset:         80
        .size:           8
        .value_kind:     hidden_global_offset_z
      - .offset:         88
        .size:           2
        .value_kind:     hidden_grid_dims
    .group_segment_fixed_size: 0
    .kernarg_segment_align: 8
    .kernarg_segment_size: 280
    .language:       OpenCL C
    .language_version:
      - 2
      - 0
    .max_flat_workgroup_size: 1024
    .name:           _Z11fp_preact_fPA6_A6_fPfPA6_S0_
    .private_segment_fixed_size: 0
    .sgpr_count:     16
    .sgpr_spill_count: 0
    .symbol:         _Z11fp_preact_fPA6_A6_fPfPA6_S0_.kd
    .uniform_work_group_size: 1
    .uses_dynamic_stack: false
    .vgpr_count:     16
    .vgpr_spill_count: 0
    .wavefront_size: 64
  - .agpr_count:     0
    .args:
      - .address_space:  global
        .offset:         0
        .size:           8
        .value_kind:     global_buffer
      - .address_space:  global
        .offset:         8
        .size:           8
        .value_kind:     global_buffer
      - .offset:         16
        .size:           4
        .value_kind:     hidden_block_count_x
      - .offset:         20
        .size:           4
        .value_kind:     hidden_block_count_y
      - .offset:         24
        .size:           4
        .value_kind:     hidden_block_count_z
      - .offset:         28
        .size:           2
        .value_kind:     hidden_group_size_x
      - .offset:         30
        .size:           2
        .value_kind:     hidden_group_size_y
      - .offset:         32
        .size:           2
        .value_kind:     hidden_group_size_z
      - .offset:         34
        .size:           2
        .value_kind:     hidden_remainder_x
      - .offset:         36
        .size:           2
        .value_kind:     hidden_remainder_y
      - .offset:         38
        .size:           2
        .value_kind:     hidden_remainder_z
      - .offset:         56
        .size:           8
        .value_kind:     hidden_global_offset_x
      - .offset:         64
        .size:           8
        .value_kind:     hidden_global_offset_y
      - .offset:         72
        .size:           8
        .value_kind:     hidden_global_offset_z
      - .offset:         80
        .size:           2
        .value_kind:     hidden_grid_dims
    .group_segment_fixed_size: 0
    .kernarg_segment_align: 8
    .kernarg_segment_size: 272
    .language:       OpenCL C
    .language_version:
      - 2
      - 0
    .max_flat_workgroup_size: 1024
    .name:           _Z9fp_bias_fPfS_
    .private_segment_fixed_size: 0
    .sgpr_count:     11
    .sgpr_spill_count: 0
    .symbol:         _Z9fp_bias_fPfS_.kd
    .uniform_work_group_size: 1
    .uses_dynamic_stack: false
    .vgpr_count:     8
    .vgpr_spill_count: 0
    .wavefront_size: 64
  - .agpr_count:     0
    .args:
      - .address_space:  global
        .offset:         0
        .size:           8
        .value_kind:     global_buffer
      - .address_space:  global
        .offset:         8
        .size:           8
        .value_kind:     global_buffer
      - .address_space:  global
        .offset:         16
        .size:           8
        .value_kind:     global_buffer
      - .offset:         24
        .size:           4
        .value_kind:     hidden_block_count_x
      - .offset:         28
        .size:           4
        .value_kind:     hidden_block_count_y
      - .offset:         32
        .size:           4
        .value_kind:     hidden_block_count_z
      - .offset:         36
        .size:           2
        .value_kind:     hidden_group_size_x
      - .offset:         38
        .size:           2
        .value_kind:     hidden_group_size_y
      - .offset:         40
        .size:           2
        .value_kind:     hidden_group_size_z
      - .offset:         42
        .size:           2
        .value_kind:     hidden_remainder_x
      - .offset:         44
        .size:           2
        .value_kind:     hidden_remainder_y
      - .offset:         46
        .size:           2
        .value_kind:     hidden_remainder_z
      - .offset:         64
        .size:           8
        .value_kind:     hidden_global_offset_x
      - .offset:         72
        .size:           8
        .value_kind:     hidden_global_offset_y
      - .offset:         80
        .size:           8
        .value_kind:     hidden_global_offset_z
      - .offset:         88
        .size:           2
        .value_kind:     hidden_grid_dims
    .group_segment_fixed_size: 0
    .kernarg_segment_align: 8
    .kernarg_segment_size: 280
    .language:       OpenCL C
    .language_version:
      - 2
      - 0
    .max_flat_workgroup_size: 1024
    .name:           _Z11bp_weight_fPA6_A6_A6_fPfPS0_
    .private_segment_fixed_size: 0
    .sgpr_count:     16
    .sgpr_spill_count: 0
    .symbol:         _Z11bp_weight_fPA6_A6_A6_fPfPS0_.kd
    .uniform_work_group_size: 1
    .uses_dynamic_stack: false
    .vgpr_count:     19
    .vgpr_spill_count: 0
    .wavefront_size: 64
  - .agpr_count:     0
    .args:
      - .address_space:  global
        .offset:         0
        .size:           8
        .value_kind:     global_buffer
      - .address_space:  global
        .offset:         8
        .size:           8
        .value_kind:     global_buffer
      - .offset:         16
        .size:           4
        .value_kind:     hidden_block_count_x
      - .offset:         20
        .size:           4
        .value_kind:     hidden_block_count_y
      - .offset:         24
        .size:           4
        .value_kind:     hidden_block_count_z
      - .offset:         28
        .size:           2
        .value_kind:     hidden_group_size_x
      - .offset:         30
        .size:           2
        .value_kind:     hidden_group_size_y
      - .offset:         32
        .size:           2
        .value_kind:     hidden_group_size_z
      - .offset:         34
        .size:           2
        .value_kind:     hidden_remainder_x
      - .offset:         36
        .size:           2
        .value_kind:     hidden_remainder_y
      - .offset:         38
        .size:           2
        .value_kind:     hidden_remainder_z
      - .offset:         56
        .size:           8
        .value_kind:     hidden_global_offset_x
      - .offset:         64
        .size:           8
        .value_kind:     hidden_global_offset_y
      - .offset:         72
        .size:           8
        .value_kind:     hidden_global_offset_z
      - .offset:         80
        .size:           2
        .value_kind:     hidden_grid_dims
    .group_segment_fixed_size: 0
    .kernarg_segment_align: 8
    .kernarg_segment_size: 272
    .language:       OpenCL C
    .language_version:
      - 2
      - 0
    .max_flat_workgroup_size: 1024
    .name:           _Z9bp_bias_fPfS_
    .private_segment_fixed_size: 0
    .sgpr_count:     11
    .sgpr_spill_count: 0
    .symbol:         _Z9bp_bias_fPfS_.kd
    .uniform_work_group_size: 1
    .uses_dynamic_stack: false
    .vgpr_count:     8
    .vgpr_spill_count: 0
    .wavefront_size: 64
  - .agpr_count:     0
    .args:
      - .address_space:  global
        .offset:         0
        .size:           8
        .value_kind:     global_buffer
      - .address_space:  global
        .offset:         8
        .size:           8
        .value_kind:     global_buffer
      - .address_space:  global
        .offset:         16
        .size:           8
        .value_kind:     global_buffer
      - .offset:         24
        .size:           4
        .value_kind:     hidden_block_count_x
      - .offset:         28
        .size:           4
        .value_kind:     hidden_block_count_y
      - .offset:         32
        .size:           4
        .value_kind:     hidden_block_count_z
      - .offset:         36
        .size:           2
        .value_kind:     hidden_group_size_x
      - .offset:         38
        .size:           2
        .value_kind:     hidden_group_size_y
      - .offset:         40
        .size:           2
        .value_kind:     hidden_group_size_z
      - .offset:         42
        .size:           2
        .value_kind:     hidden_remainder_x
      - .offset:         44
        .size:           2
        .value_kind:     hidden_remainder_y
      - .offset:         46
        .size:           2
        .value_kind:     hidden_remainder_z
      - .offset:         64
        .size:           8
        .value_kind:     hidden_global_offset_x
      - .offset:         72
        .size:           8
        .value_kind:     hidden_global_offset_y
      - .offset:         80
        .size:           8
        .value_kind:     hidden_global_offset_z
      - .offset:         88
        .size:           2
        .value_kind:     hidden_grid_dims
    .group_segment_fixed_size: 0
    .kernarg_segment_align: 8
    .kernarg_segment_size: 280
    .language:       OpenCL C
    .language_version:
      - 2
      - 0
    .max_flat_workgroup_size: 1024
    .name:           _Z12bp_output_s1PA6_A6_fPA6_S0_Pf
    .private_segment_fixed_size: 0
    .sgpr_count:     20
    .sgpr_spill_count: 0
    .symbol:         _Z12bp_output_s1PA6_A6_fPA6_S0_Pf.kd
    .uniform_work_group_size: 1
    .uses_dynamic_stack: false
    .vgpr_count:     17
    .vgpr_spill_count: 0
    .wavefront_size: 64
  - .agpr_count:     0
    .args:
      - .address_space:  global
        .offset:         0
        .size:           8
        .value_kind:     global_buffer
      - .address_space:  global
        .offset:         8
        .size:           8
        .value_kind:     global_buffer
      - .address_space:  global
        .offset:         16
        .size:           8
        .value_kind:     global_buffer
      - .offset:         24
        .size:           4
        .value_kind:     hidden_block_count_x
      - .offset:         28
        .size:           4
        .value_kind:     hidden_block_count_y
      - .offset:         32
        .size:           4
        .value_kind:     hidden_block_count_z
      - .offset:         36
        .size:           2
        .value_kind:     hidden_group_size_x
      - .offset:         38
        .size:           2
        .value_kind:     hidden_group_size_y
      - .offset:         40
        .size:           2
        .value_kind:     hidden_group_size_z
      - .offset:         42
        .size:           2
        .value_kind:     hidden_remainder_x
      - .offset:         44
        .size:           2
        .value_kind:     hidden_remainder_y
      - .offset:         46
        .size:           2
        .value_kind:     hidden_remainder_z
      - .offset:         64
        .size:           8
        .value_kind:     hidden_global_offset_x
      - .offset:         72
        .size:           8
        .value_kind:     hidden_global_offset_y
      - .offset:         80
        .size:           8
        .value_kind:     hidden_global_offset_z
      - .offset:         88
        .size:           2
        .value_kind:     hidden_grid_dims
    .group_segment_fixed_size: 0
    .kernarg_segment_align: 8
    .kernarg_segment_size: 280
    .language:       OpenCL C
    .language_version:
      - 2
      - 0
    .max_flat_workgroup_size: 1024
    .name:           _Z12bp_preact_s1PA6_A6_fS1_S1_
    .private_segment_fixed_size: 0
    .sgpr_count:     16
    .sgpr_spill_count: 0
    .symbol:         _Z12bp_preact_s1PA6_A6_fS1_S1_.kd
    .uniform_work_group_size: 1
    .uses_dynamic_stack: false
    .vgpr_count:     18
    .vgpr_spill_count: 0
    .wavefront_size: 64
  - .agpr_count:     0
    .args:
      - .address_space:  global
        .offset:         0
        .size:           8
        .value_kind:     global_buffer
      - .address_space:  global
        .offset:         8
        .size:           8
        .value_kind:     global_buffer
      - .address_space:  global
        .offset:         16
        .size:           8
        .value_kind:     global_buffer
      - .offset:         24
        .size:           4
        .value_kind:     hidden_block_count_x
      - .offset:         28
        .size:           4
        .value_kind:     hidden_block_count_y
      - .offset:         32
        .size:           4
        .value_kind:     hidden_block_count_z
      - .offset:         36
        .size:           2
        .value_kind:     hidden_group_size_x
      - .offset:         38
        .size:           2
        .value_kind:     hidden_group_size_y
      - .offset:         40
        .size:           2
        .value_kind:     hidden_group_size_z
      - .offset:         42
        .size:           2
        .value_kind:     hidden_remainder_x
      - .offset:         44
        .size:           2
        .value_kind:     hidden_remainder_y
      - .offset:         46
        .size:           2
        .value_kind:     hidden_remainder_z
      - .offset:         64
        .size:           8
        .value_kind:     hidden_global_offset_x
      - .offset:         72
        .size:           8
        .value_kind:     hidden_global_offset_y
      - .offset:         80
        .size:           8
        .value_kind:     hidden_global_offset_z
      - .offset:         88
        .size:           2
        .value_kind:     hidden_grid_dims
    .group_segment_fixed_size: 0
    .kernarg_segment_align: 8
    .kernarg_segment_size: 280
    .language:       OpenCL C
    .language_version:
      - 2
      - 0
    .max_flat_workgroup_size: 1024
    .name:           _Z12bp_weight_s1PA4_A4_fPA6_A6_fPA24_A24_f
    .private_segment_fixed_size: 0
    .sgpr_count:     16
    .sgpr_spill_count: 0
    .symbol:         _Z12bp_weight_s1PA4_A4_fPA6_A6_fPA24_A24_f.kd
    .uniform_work_group_size: 1
    .uses_dynamic_stack: false
    .vgpr_count:     23
    .vgpr_spill_count: 0
    .wavefront_size: 64
  - .agpr_count:     0
    .args:
      - .address_space:  global
        .offset:         0
        .size:           8
        .value_kind:     global_buffer
      - .address_space:  global
        .offset:         8
        .size:           8
        .value_kind:     global_buffer
      - .offset:         16
        .size:           4
        .value_kind:     hidden_block_count_x
      - .offset:         20
        .size:           4
        .value_kind:     hidden_block_count_y
      - .offset:         24
        .size:           4
        .value_kind:     hidden_block_count_z
      - .offset:         28
        .size:           2
        .value_kind:     hidden_group_size_x
      - .offset:         30
        .size:           2
        .value_kind:     hidden_group_size_y
      - .offset:         32
        .size:           2
        .value_kind:     hidden_group_size_z
      - .offset:         34
        .size:           2
        .value_kind:     hidden_remainder_x
      - .offset:         36
        .size:           2
        .value_kind:     hidden_remainder_y
      - .offset:         38
        .size:           2
        .value_kind:     hidden_remainder_z
      - .offset:         56
        .size:           8
        .value_kind:     hidden_global_offset_x
      - .offset:         64
        .size:           8
        .value_kind:     hidden_global_offset_y
      - .offset:         72
        .size:           8
        .value_kind:     hidden_global_offset_z
      - .offset:         80
        .size:           2
        .value_kind:     hidden_grid_dims
    .group_segment_fixed_size: 0
    .kernarg_segment_align: 8
    .kernarg_segment_size: 272
    .language:       OpenCL C
    .language_version:
      - 2
      - 0
    .max_flat_workgroup_size: 1024
    .name:           _Z10bp_bias_s1PfPA6_A6_f
    .private_segment_fixed_size: 0
    .sgpr_count:     17
    .sgpr_spill_count: 0
    .symbol:         _Z10bp_bias_s1PfPA6_A6_f.kd
    .uniform_work_group_size: 1
    .uses_dynamic_stack: false
    .vgpr_count:     11
    .vgpr_spill_count: 0
    .wavefront_size: 64
  - .agpr_count:     0
    .args:
      - .address_space:  global
        .offset:         0
        .size:           8
        .value_kind:     global_buffer
      - .address_space:  global
        .offset:         8
        .size:           8
        .value_kind:     global_buffer
      - .address_space:  global
        .offset:         16
        .size:           8
        .value_kind:     global_buffer
      - .offset:         24
        .size:           4
        .value_kind:     hidden_block_count_x
      - .offset:         28
        .size:           4
        .value_kind:     hidden_block_count_y
      - .offset:         32
        .size:           4
        .value_kind:     hidden_block_count_z
      - .offset:         36
        .size:           2
        .value_kind:     hidden_group_size_x
      - .offset:         38
        .size:           2
        .value_kind:     hidden_group_size_y
      - .offset:         40
        .size:           2
        .value_kind:     hidden_group_size_z
      - .offset:         42
        .size:           2
        .value_kind:     hidden_remainder_x
      - .offset:         44
        .size:           2
        .value_kind:     hidden_remainder_y
      - .offset:         46
        .size:           2
        .value_kind:     hidden_remainder_z
      - .offset:         64
        .size:           8
        .value_kind:     hidden_global_offset_x
      - .offset:         72
        .size:           8
        .value_kind:     hidden_global_offset_y
      - .offset:         80
        .size:           8
        .value_kind:     hidden_global_offset_z
      - .offset:         88
        .size:           2
        .value_kind:     hidden_grid_dims
    .group_segment_fixed_size: 0
    .kernarg_segment_align: 8
    .kernarg_segment_size: 280
    .language:       OpenCL C
    .language_version:
      - 2
      - 0
    .max_flat_workgroup_size: 1024
    .name:           _Z12bp_output_c1PA24_A24_fPA4_A4_fPA6_A6_f
    .private_segment_fixed_size: 0
    .sgpr_count:     16
    .sgpr_spill_count: 0
    .symbol:         _Z12bp_output_c1PA24_A24_fPA4_A4_fPA6_A6_f.kd
    .uniform_work_group_size: 1
    .uses_dynamic_stack: false
    .vgpr_count:     20
    .vgpr_spill_count: 0
    .wavefront_size: 64
  - .agpr_count:     0
    .args:
      - .address_space:  global
        .offset:         0
        .size:           8
        .value_kind:     global_buffer
      - .address_space:  global
        .offset:         8
        .size:           8
        .value_kind:     global_buffer
      - .address_space:  global
        .offset:         16
        .size:           8
        .value_kind:     global_buffer
      - .offset:         24
        .size:           4
        .value_kind:     hidden_block_count_x
      - .offset:         28
        .size:           4
        .value_kind:     hidden_block_count_y
      - .offset:         32
        .size:           4
        .value_kind:     hidden_block_count_z
      - .offset:         36
        .size:           2
        .value_kind:     hidden_group_size_x
      - .offset:         38
        .size:           2
        .value_kind:     hidden_group_size_y
      - .offset:         40
        .size:           2
        .value_kind:     hidden_group_size_z
      - .offset:         42
        .size:           2
        .value_kind:     hidden_remainder_x
      - .offset:         44
        .size:           2
        .value_kind:     hidden_remainder_y
      - .offset:         46
        .size:           2
        .value_kind:     hidden_remainder_z
      - .offset:         64
        .size:           8
        .value_kind:     hidden_global_offset_x
      - .offset:         72
        .size:           8
        .value_kind:     hidden_global_offset_y
      - .offset:         80
        .size:           8
        .value_kind:     hidden_global_offset_z
      - .offset:         88
        .size:           2
        .value_kind:     hidden_grid_dims
    .group_segment_fixed_size: 0
    .kernarg_segment_align: 8
    .kernarg_segment_size: 280
    .language:       OpenCL C
    .language_version:
      - 2
      - 0
    .max_flat_workgroup_size: 1024
    .name:           _Z12bp_preact_c1PA24_A24_fS1_S1_
    .private_segment_fixed_size: 0
    .sgpr_count:     20
    .sgpr_spill_count: 0
    .symbol:         _Z12bp_preact_c1PA24_A24_fS1_S1_.kd
    .uniform_work_group_size: 1
    .uses_dynamic_stack: false
    .vgpr_count:     18
    .vgpr_spill_count: 0
    .wavefront_size: 64
  - .agpr_count:     0
    .args:
      - .address_space:  global
        .offset:         0
        .size:           8
        .value_kind:     global_buffer
      - .address_space:  global
        .offset:         8
        .size:           8
        .value_kind:     global_buffer
      - .address_space:  global
        .offset:         16
        .size:           8
        .value_kind:     global_buffer
      - .offset:         24
        .size:           4
        .value_kind:     hidden_block_count_x
      - .offset:         28
        .size:           4
        .value_kind:     hidden_block_count_y
      - .offset:         32
        .size:           4
        .value_kind:     hidden_block_count_z
      - .offset:         36
        .size:           2
        .value_kind:     hidden_group_size_x
      - .offset:         38
        .size:           2
        .value_kind:     hidden_group_size_y
      - .offset:         40
        .size:           2
        .value_kind:     hidden_group_size_z
      - .offset:         42
        .size:           2
        .value_kind:     hidden_remainder_x
      - .offset:         44
        .size:           2
        .value_kind:     hidden_remainder_y
      - .offset:         46
        .size:           2
        .value_kind:     hidden_remainder_z
      - .offset:         64
        .size:           8
        .value_kind:     hidden_global_offset_x
      - .offset:         72
        .size:           8
        .value_kind:     hidden_global_offset_y
      - .offset:         80
        .size:           8
        .value_kind:     hidden_global_offset_z
      - .offset:         88
        .size:           2
        .value_kind:     hidden_grid_dims
    .group_segment_fixed_size: 0
    .kernarg_segment_align: 8
    .kernarg_segment_size: 280
    .language:       OpenCL C
    .language_version:
      - 2
      - 0
    .max_flat_workgroup_size: 1024
    .name:           _Z12bp_weight_c1PA5_A5_fPA24_A24_fPA28_f
    .private_segment_fixed_size: 0
    .sgpr_count:     20
    .sgpr_spill_count: 0
    .symbol:         _Z12bp_weight_c1PA5_A5_fPA24_A24_fPA28_f.kd
    .uniform_work_group_size: 1
    .uses_dynamic_stack: false
    .vgpr_count:     18
    .vgpr_spill_count: 0
    .wavefront_size: 64
  - .agpr_count:     0
    .args:
      - .address_space:  global
        .offset:         0
        .size:           8
        .value_kind:     global_buffer
      - .address_space:  global
        .offset:         8
        .size:           8
        .value_kind:     global_buffer
      - .offset:         16
        .size:           4
        .value_kind:     hidden_block_count_x
      - .offset:         20
        .size:           4
        .value_kind:     hidden_block_count_y
      - .offset:         24
        .size:           4
        .value_kind:     hidden_block_count_z
      - .offset:         28
        .size:           2
        .value_kind:     hidden_group_size_x
      - .offset:         30
        .size:           2
        .value_kind:     hidden_group_size_y
      - .offset:         32
        .size:           2
        .value_kind:     hidden_group_size_z
      - .offset:         34
        .size:           2
        .value_kind:     hidden_remainder_x
      - .offset:         36
        .size:           2
        .value_kind:     hidden_remainder_y
      - .offset:         38
        .size:           2
        .value_kind:     hidden_remainder_z
      - .offset:         56
        .size:           8
        .value_kind:     hidden_global_offset_x
      - .offset:         64
        .size:           8
        .value_kind:     hidden_global_offset_y
      - .offset:         72
        .size:           8
        .value_kind:     hidden_global_offset_z
      - .offset:         80
        .size:           2
        .value_kind:     hidden_grid_dims
    .group_segment_fixed_size: 0
    .kernarg_segment_align: 8
    .kernarg_segment_size: 272
    .language:       OpenCL C
    .language_version:
      - 2
      - 0
    .max_flat_workgroup_size: 1024
    .name:           _Z10bp_bias_c1PfPA24_A24_f
    .private_segment_fixed_size: 0
    .sgpr_count:     14
    .sgpr_spill_count: 0
    .symbol:         _Z10bp_bias_c1PfPA24_A24_f.kd
    .uniform_work_group_size: 1
    .uses_dynamic_stack: false
    .vgpr_count:     14
    .vgpr_spill_count: 0
    .wavefront_size: 64
amdhsa.target:   amdgcn-amd-amdhsa--gfx90a
amdhsa.version:
  - 1
  - 2
...

	.end_amdgpu_metadata
